;; amdgpu-corpus repo=zjin-lcf/HeCBench kind=compiled arch=gfx1100 opt=O3
	.text
	.amdgcn_target "amdgcn-amd-amdhsa--gfx1100"
	.amdhsa_code_object_version 6
	.protected	_Z5check11int_fastdivPi ; -- Begin function _Z5check11int_fastdivPi
	.globl	_Z5check11int_fastdivPi
	.p2align	8
	.type	_Z5check11int_fastdivPi,@function
_Z5check11int_fastdivPi:                ; @_Z5check11int_fastdivPi
; %bb.0:
	s_clause 0x2
	s_load_b128 s[4:7], s[0:1], 0x0
	s_load_b64 s[2:3], s[0:1], 0x10
	s_load_b32 s0, s[0:1], 0x24
	s_waitcnt lgkmcnt(0)
	s_abs_i32 s8, s4
	s_and_b32 s0, s0, 0xffff
	v_cvt_f32_u32_e32 v1, s8
	s_sub_i32 s1, 0, s8
	s_delay_alu instid0(VALU_DEP_1) | instskip(SKIP_2) | instid1(VALU_DEP_1)
	v_rcp_iflag_f32_e32 v1, v1
	s_waitcnt_depctr 0xfff
	v_mul_f32_e32 v1, 0x4f7ffffe, v1
	v_cvt_u32_f32_e32 v3, v1
	v_mad_u64_u32 v[1:2], null, s15, s0, v[0:1]
	s_delay_alu instid0(VALU_DEP_2) | instskip(SKIP_3) | instid1(VALU_DEP_2)
	v_mul_lo_u32 v4, s1, v3
	s_ashr_i32 s1, s4, 31
	s_cmp_lt_i32 s6, 0
	s_mov_b32 s4, exec_lo
	v_sub_nc_u32_e32 v0, 0, v1
	v_ashrrev_i32_e32 v9, 31, v1
	s_delay_alu instid0(VALU_DEP_3) | instskip(NEXT) | instid1(VALU_DEP_3)
	v_mul_hi_u32 v2, v3, v4
	v_max_i32_e32 v5, v1, v0
	s_delay_alu instid0(VALU_DEP_2) | instskip(NEXT) | instid1(VALU_DEP_1)
	v_add_nc_u32_e32 v4, v3, v2
	v_mul_hi_u32 v3, v5, v4
	s_delay_alu instid0(VALU_DEP_1) | instskip(NEXT) | instid1(VALU_DEP_1)
	v_mul_lo_u32 v2, v3, s8
	v_sub_nc_u32_e32 v7, v5, v2
	v_mul_hi_i32 v2, v1, s5
	s_delay_alu instid0(VALU_DEP_2) | instskip(SKIP_2) | instid1(VALU_DEP_1)
	v_subrev_nc_u32_e32 v8, s8, v7
	v_cmp_le_u32_e32 vcc_lo, s8, v7
	v_add_nc_u32_e32 v5, 1, v3
	v_cndmask_b32_e32 v3, v3, v5, vcc_lo
	s_delay_alu instid0(VALU_DEP_1) | instskip(SKIP_3) | instid1(VALU_DEP_3)
	v_mad_u64_u32 v[5:6], null, v1, s7, v[2:3]
	v_cndmask_b32_e32 v2, v7, v8, vcc_lo
	v_add_nc_u32_e32 v6, 1, v3
	v_xor_b32_e32 v7, s1, v9
	v_cmp_le_u32_e32 vcc_lo, s8, v2
	s_delay_alu instid0(VALU_DEP_3) | instskip(SKIP_3) | instid1(VALU_DEP_1)
	v_cndmask_b32_e32 v2, v3, v6, vcc_lo
	v_ashrrev_i32_e32 v3, s6, v5
	v_lshrrev_b32_e32 v6, 31, v5
	s_cselect_b32 vcc_lo, -1, 0
	v_add_nc_u32_e32 v3, v6, v3
	v_xor_b32_e32 v2, v2, v7
	s_delay_alu instid0(VALU_DEP_2) | instskip(NEXT) | instid1(VALU_DEP_2)
	v_cndmask_b32_e32 v3, v3, v5, vcc_lo
	v_sub_nc_u32_e32 v2, v2, v7
	s_delay_alu instid0(VALU_DEP_1)
	v_cmpx_ne_u32_e64 v2, v3
	s_cbranch_execz .LBB0_5
; %bb.1:
	s_mov_b32 s10, exec_lo
	s_mov_b32 s9, exec_lo
	v_mbcnt_lo_u32_b32 v5, s10, 0
                                        ; implicit-def: $vgpr6
	s_delay_alu instid0(VALU_DEP_1)
	v_cmpx_eq_u32_e32 0, v5
	s_cbranch_execz .LBB0_3
; %bb.2:
	s_bcnt1_i32_b32 s0, s10
	s_delay_alu instid0(SALU_CYCLE_1)
	v_dual_mov_b32 v6, 0 :: v_dual_mov_b32 v7, s0
	global_atomic_add_u32 v6, v6, v7, s[2:3] glc
.LBB0_3:
	s_or_b32 exec_lo, exec_lo, s9
	s_waitcnt vmcnt(0)
	v_readfirstlane_b32 s0, v6
	s_delay_alu instid0(VALU_DEP_1) | instskip(NEXT) | instid1(VALU_DEP_1)
	v_add_nc_u32_e32 v5, s0, v5
	v_cmp_eq_u32_e64 s0, 0, v5
	s_delay_alu instid0(VALU_DEP_1)
	s_and_b32 exec_lo, exec_lo, s0
	s_cbranch_execz .LBB0_5
; %bb.4:
	v_mov_b32_e32 v5, 0
	global_store_b96 v5, v[1:3], s[2:3] offset:4
.LBB0_5:
	s_or_b32 exec_lo, exec_lo, s4
	v_sub_nc_u32_e32 v1, 0, v0
	s_delay_alu instid0(VALU_DEP_1) | instskip(SKIP_1) | instid1(VALU_DEP_2)
	v_max_i32_e32 v2, v0, v1
	v_mul_hi_i32 v1, v0, s5
	v_mul_hi_u32 v4, v2, v4
	s_delay_alu instid0(VALU_DEP_1) | instskip(SKIP_1) | instid1(VALU_DEP_2)
	v_mul_lo_u32 v3, v4, s8
	v_add_nc_u32_e32 v6, 1, v4
	v_sub_nc_u32_e32 v5, v2, v3
	v_mad_u64_u32 v[2:3], null, s7, v0, v[1:2]
	s_delay_alu instid0(VALU_DEP_2) | instskip(SKIP_1) | instid1(VALU_DEP_1)
	v_subrev_nc_u32_e32 v1, s8, v5
	v_cmp_le_u32_e64 s0, s8, v5
	v_cndmask_b32_e64 v3, v4, v6, s0
	s_delay_alu instid0(VALU_DEP_3) | instskip(SKIP_2) | instid1(VALU_DEP_4)
	v_cndmask_b32_e64 v1, v5, v1, s0
	v_ashrrev_i32_e32 v4, 31, v0
	v_ashrrev_i32_e32 v6, s6, v2
	v_add_nc_u32_e32 v5, 1, v3
	s_delay_alu instid0(VALU_DEP_4) | instskip(NEXT) | instid1(VALU_DEP_4)
	v_cmp_le_u32_e64 s0, s8, v1
	v_xor_b32_e32 v4, s1, v4
	s_delay_alu instid0(VALU_DEP_2) | instskip(SKIP_2) | instid1(VALU_DEP_2)
	v_cndmask_b32_e64 v1, v3, v5, s0
	v_lshrrev_b32_e32 v3, 31, v2
	s_mov_b32 s0, exec_lo
	v_xor_b32_e32 v1, v1, v4
	s_delay_alu instid0(VALU_DEP_2) | instskip(NEXT) | instid1(VALU_DEP_2)
	v_add_nc_u32_e32 v3, v3, v6
	v_sub_nc_u32_e32 v1, v1, v4
	s_delay_alu instid0(VALU_DEP_2) | instskip(NEXT) | instid1(VALU_DEP_1)
	v_cndmask_b32_e32 v2, v3, v2, vcc_lo
	v_cmpx_ne_u32_e64 v1, v2
	s_cbranch_execz .LBB0_10
; %bb.6:
	s_mov_b32 s1, exec_lo
	s_mov_b32 s0, exec_lo
	v_mbcnt_lo_u32_b32 v3, s1, 0
                                        ; implicit-def: $vgpr4
	s_delay_alu instid0(VALU_DEP_1)
	v_cmpx_eq_u32_e32 0, v3
	s_cbranch_execz .LBB0_8
; %bb.7:
	s_bcnt1_i32_b32 s1, s1
	s_delay_alu instid0(SALU_CYCLE_1)
	v_dual_mov_b32 v4, 0 :: v_dual_mov_b32 v5, s1
	global_atomic_add_u32 v4, v4, v5, s[2:3] glc
.LBB0_8:
	s_or_b32 exec_lo, exec_lo, s0
	s_waitcnt vmcnt(0)
	v_readfirstlane_b32 s0, v4
	s_delay_alu instid0(VALU_DEP_1) | instskip(NEXT) | instid1(VALU_DEP_1)
	v_add_nc_u32_e32 v3, s0, v3
	v_cmp_eq_u32_e32 vcc_lo, 0, v3
	s_and_b32 exec_lo, exec_lo, vcc_lo
	s_cbranch_execz .LBB0_10
; %bb.9:
	v_mov_b32_e32 v3, 0
	global_store_b96 v3, v[0:2], s[2:3] offset:4
.LBB0_10:
	s_nop 0
	s_sendmsg sendmsg(MSG_DEALLOC_VGPRS)
	s_endpgm
	.section	.rodata,"a",@progbits
	.p2align	6, 0x0
	.amdhsa_kernel _Z5check11int_fastdivPi
		.amdhsa_group_segment_fixed_size 0
		.amdhsa_private_segment_fixed_size 0
		.amdhsa_kernarg_size 280
		.amdhsa_user_sgpr_count 15
		.amdhsa_user_sgpr_dispatch_ptr 0
		.amdhsa_user_sgpr_queue_ptr 0
		.amdhsa_user_sgpr_kernarg_segment_ptr 1
		.amdhsa_user_sgpr_dispatch_id 0
		.amdhsa_user_sgpr_private_segment_size 0
		.amdhsa_wavefront_size32 1
		.amdhsa_uses_dynamic_stack 0
		.amdhsa_enable_private_segment 0
		.amdhsa_system_sgpr_workgroup_id_x 1
		.amdhsa_system_sgpr_workgroup_id_y 0
		.amdhsa_system_sgpr_workgroup_id_z 0
		.amdhsa_system_sgpr_workgroup_info 0
		.amdhsa_system_vgpr_workitem_id 0
		.amdhsa_next_free_vgpr 10
		.amdhsa_next_free_sgpr 16
		.amdhsa_reserve_vcc 1
		.amdhsa_float_round_mode_32 0
		.amdhsa_float_round_mode_16_64 0
		.amdhsa_float_denorm_mode_32 3
		.amdhsa_float_denorm_mode_16_64 3
		.amdhsa_dx10_clamp 1
		.amdhsa_ieee_mode 1
		.amdhsa_fp16_overflow 0
		.amdhsa_workgroup_processor_mode 1
		.amdhsa_memory_ordered 1
		.amdhsa_forward_progress 0
		.amdhsa_shared_vgpr_count 0
		.amdhsa_exception_fp_ieee_invalid_op 0
		.amdhsa_exception_fp_denorm_src 0
		.amdhsa_exception_fp_ieee_div_zero 0
		.amdhsa_exception_fp_ieee_overflow 0
		.amdhsa_exception_fp_ieee_underflow 0
		.amdhsa_exception_fp_ieee_inexact 0
		.amdhsa_exception_int_div_zero 0
	.end_amdhsa_kernel
	.text
.Lfunc_end0:
	.size	_Z5check11int_fastdivPi, .Lfunc_end0-_Z5check11int_fastdivPi
                                        ; -- End function
	.section	.AMDGPU.csdata,"",@progbits
; Kernel info:
; codeLenInByte = 668
; NumSgprs: 18
; NumVgprs: 10
; ScratchSize: 0
; MemoryBound: 0
; FloatMode: 240
; IeeeMode: 1
; LDSByteSize: 0 bytes/workgroup (compile time only)
; SGPRBlocks: 2
; VGPRBlocks: 1
; NumSGPRsForWavesPerEU: 18
; NumVGPRsForWavesPerEU: 10
; Occupancy: 16
; WaveLimiterHint : 0
; COMPUTE_PGM_RSRC2:SCRATCH_EN: 0
; COMPUTE_PGM_RSRC2:USER_SGPR: 15
; COMPUTE_PGM_RSRC2:TRAP_HANDLER: 0
; COMPUTE_PGM_RSRC2:TGID_X_EN: 1
; COMPUTE_PGM_RSRC2:TGID_Y_EN: 0
; COMPUTE_PGM_RSRC2:TGID_Z_EN: 0
; COMPUTE_PGM_RSRC2:TIDIG_COMP_CNT: 0
	.section	.text._Z15throughput_testIiEvT_S0_S0_iPi,"axG",@progbits,_Z15throughput_testIiEvT_S0_S0_iPi,comdat
	.protected	_Z15throughput_testIiEvT_S0_S0_iPi ; -- Begin function _Z15throughput_testIiEvT_S0_S0_iPi
	.globl	_Z15throughput_testIiEvT_S0_S0_iPi
	.p2align	8
	.type	_Z15throughput_testIiEvT_S0_S0_iPi,@function
_Z15throughput_testIiEvT_S0_S0_iPi:     ; @_Z15throughput_testIiEvT_S0_S0_iPi
; %bb.0:
	s_clause 0x1
	s_load_b128 s[4:7], s[0:1], 0x0
	s_load_b32 s2, s[0:1], 0x24
	s_waitcnt lgkmcnt(0)
	s_abs_i32 s8, s4
	s_abs_i32 s9, s5
	v_cvt_f32_u32_e32 v1, s8
	v_cvt_f32_u32_e32 v2, s9
	s_abs_i32 s10, s6
	s_and_b32 s2, s2, 0xffff
	v_cvt_f32_u32_e32 v3, s10
	v_rcp_iflag_f32_e32 v1, v1
	v_rcp_iflag_f32_e32 v2, v2
	s_sub_i32 s3, 0, s10
	s_delay_alu instid0(VALU_DEP_1) | instskip(SKIP_2) | instid1(VALU_DEP_1)
	v_rcp_iflag_f32_e32 v3, v3
	s_waitcnt_depctr 0xfff
	v_dual_mul_f32 v1, 0x4f7ffffe, v1 :: v_dual_mul_f32 v4, 0x4f7ffffe, v2
	v_cvt_u32_f32_e32 v5, v1
	v_mad_u64_u32 v[1:2], null, s15, s2, v[0:1]
	s_delay_alu instid0(VALU_DEP_3) | instskip(SKIP_2) | instid1(VALU_DEP_1)
	v_cvt_u32_f32_e32 v0, v4
	v_mul_f32_e32 v3, 0x4f7ffffe, v3
	s_sub_i32 s2, 0, s8
	v_cvt_u32_f32_e32 v2, v3
	v_mul_lo_u32 v3, s2, v5
	s_sub_i32 s2, 0, s9
	v_sub_nc_u32_e32 v7, 0, v1
	v_mul_lo_u32 v4, s2, v0
	v_mul_lo_u32 v6, s3, v2
	s_ashr_i32 s2, s4, 31
	s_ashr_i32 s3, s5, 31
	v_max_i32_e32 v7, v1, v7
	v_mul_hi_u32 v3, v5, v3
	v_ashrrev_i32_e32 v1, 31, v1
	s_ashr_i32 s4, s6, 31
	v_mul_hi_u32 v4, v0, v4
	v_mul_hi_u32 v6, v2, v6
	s_cmp_lg_u32 s7, 0
	v_xor_b32_e32 v9, s3, v1
	v_add_nc_u32_e32 v3, v5, v3
	v_xor_b32_e32 v5, s2, v1
	v_xor_b32_e32 v1, s4, v1
	v_add_nc_u32_e32 v0, v0, v4
	s_delay_alu instid0(VALU_DEP_4) | instskip(NEXT) | instid1(VALU_DEP_2)
	v_mul_hi_u32 v3, v7, v3
	v_mul_hi_u32 v0, v7, v0
	s_delay_alu instid0(VALU_DEP_2) | instskip(SKIP_1) | instid1(VALU_DEP_2)
	v_mul_lo_u32 v4, v3, s8
	v_add_nc_u32_e32 v10, 1, v3
	v_sub_nc_u32_e32 v4, v7, v4
	s_delay_alu instid0(VALU_DEP_1) | instskip(NEXT) | instid1(VALU_DEP_3)
	v_cmp_le_u32_e32 vcc_lo, s8, v4
	v_cndmask_b32_e32 v3, v3, v10, vcc_lo
	v_add_nc_u32_e32 v2, v2, v6
	v_mul_lo_u32 v6, v0, s9
	s_delay_alu instid0(VALU_DEP_2) | instskip(NEXT) | instid1(VALU_DEP_2)
	v_mul_hi_u32 v2, v7, v2
	v_sub_nc_u32_e32 v6, v7, v6
	s_delay_alu instid0(VALU_DEP_2) | instskip(NEXT) | instid1(VALU_DEP_2)
	v_mul_lo_u32 v8, v2, s10
	v_cmp_le_u32_e64 s2, s9, v6
	v_subrev_nc_u32_e32 v10, s9, v6
	v_add_nc_u32_e32 v12, 1, v2
	s_delay_alu instid0(VALU_DEP_2) | instskip(SKIP_2) | instid1(VALU_DEP_2)
	v_cndmask_b32_e64 v6, v6, v10, s2
	v_sub_nc_u32_e32 v7, v7, v8
	v_subrev_nc_u32_e32 v8, s8, v4
	v_cmp_le_u32_e64 s3, s10, v7
	s_delay_alu instid0(VALU_DEP_2) | instskip(SKIP_1) | instid1(VALU_DEP_3)
	v_cndmask_b32_e32 v4, v4, v8, vcc_lo
	v_add_nc_u32_e32 v8, 1, v3
	v_cndmask_b32_e64 v2, v2, v12, s3
	s_delay_alu instid0(VALU_DEP_3) | instskip(NEXT) | instid1(VALU_DEP_3)
	v_cmp_le_u32_e32 vcc_lo, s8, v4
	v_cndmask_b32_e32 v3, v3, v8, vcc_lo
	v_cmp_le_u32_e32 vcc_lo, s9, v6
	v_add_nc_u32_e32 v11, 1, v0
	s_delay_alu instid0(VALU_DEP_3) | instskip(NEXT) | instid1(VALU_DEP_2)
	v_xor_b32_e32 v3, v3, v5
	v_cndmask_b32_e64 v0, v0, v11, s2
	v_subrev_nc_u32_e32 v11, s10, v7
	s_cselect_b32 s2, -1, 0
	s_delay_alu instid0(VALU_DEP_3) | instskip(NEXT) | instid1(VALU_DEP_3)
	v_sub_nc_u32_e32 v3, v3, v5
	v_add_nc_u32_e32 v10, 1, v0
	s_delay_alu instid0(VALU_DEP_3) | instskip(SKIP_1) | instid1(VALU_DEP_3)
	v_cndmask_b32_e64 v7, v7, v11, s3
	v_add_nc_u32_e32 v11, 1, v2
	v_cndmask_b32_e32 v0, v0, v10, vcc_lo
	s_delay_alu instid0(VALU_DEP_3) | instskip(NEXT) | instid1(VALU_DEP_2)
	v_cmp_le_u32_e32 vcc_lo, s10, v7
	v_xor_b32_e32 v0, v0, v9
	s_delay_alu instid0(VALU_DEP_4) | instskip(NEXT) | instid1(VALU_DEP_2)
	v_cndmask_b32_e32 v2, v2, v11, vcc_lo
	v_sub_nc_u32_e32 v0, v0, v9
	s_delay_alu instid0(VALU_DEP_2) | instskip(NEXT) | instid1(VALU_DEP_1)
	v_xor_b32_e32 v2, v2, v1
	v_sub_nc_u32_e32 v1, v2, v1
	s_delay_alu instid0(VALU_DEP_1) | instskip(NEXT) | instid1(VALU_DEP_1)
	v_add3_u32 v0, v0, v3, v1
	v_cmp_ne_u32_e32 vcc_lo, 0, v0
	s_and_b32 s2, s2, vcc_lo
	s_delay_alu instid0(SALU_CYCLE_1)
	s_and_saveexec_b32 s3, s2
	s_cbranch_execz .LBB1_2
; %bb.1:
	s_load_b64 s[0:1], s[0:1], 0x10
	v_mov_b32_e32 v1, 0
	s_waitcnt lgkmcnt(0)
	global_store_b32 v1, v0, s[0:1]
.LBB1_2:
	s_nop 0
	s_sendmsg sendmsg(MSG_DEALLOC_VGPRS)
	s_endpgm
	.section	.rodata,"a",@progbits
	.p2align	6, 0x0
	.amdhsa_kernel _Z15throughput_testIiEvT_S0_S0_iPi
		.amdhsa_group_segment_fixed_size 0
		.amdhsa_private_segment_fixed_size 0
		.amdhsa_kernarg_size 280
		.amdhsa_user_sgpr_count 15
		.amdhsa_user_sgpr_dispatch_ptr 0
		.amdhsa_user_sgpr_queue_ptr 0
		.amdhsa_user_sgpr_kernarg_segment_ptr 1
		.amdhsa_user_sgpr_dispatch_id 0
		.amdhsa_user_sgpr_private_segment_size 0
		.amdhsa_wavefront_size32 1
		.amdhsa_uses_dynamic_stack 0
		.amdhsa_enable_private_segment 0
		.amdhsa_system_sgpr_workgroup_id_x 1
		.amdhsa_system_sgpr_workgroup_id_y 0
		.amdhsa_system_sgpr_workgroup_id_z 0
		.amdhsa_system_sgpr_workgroup_info 0
		.amdhsa_system_vgpr_workitem_id 0
		.amdhsa_next_free_vgpr 13
		.amdhsa_next_free_sgpr 16
		.amdhsa_reserve_vcc 1
		.amdhsa_float_round_mode_32 0
		.amdhsa_float_round_mode_16_64 0
		.amdhsa_float_denorm_mode_32 3
		.amdhsa_float_denorm_mode_16_64 3
		.amdhsa_dx10_clamp 1
		.amdhsa_ieee_mode 1
		.amdhsa_fp16_overflow 0
		.amdhsa_workgroup_processor_mode 1
		.amdhsa_memory_ordered 1
		.amdhsa_forward_progress 0
		.amdhsa_shared_vgpr_count 0
		.amdhsa_exception_fp_ieee_invalid_op 0
		.amdhsa_exception_fp_denorm_src 0
		.amdhsa_exception_fp_ieee_div_zero 0
		.amdhsa_exception_fp_ieee_overflow 0
		.amdhsa_exception_fp_ieee_underflow 0
		.amdhsa_exception_fp_ieee_inexact 0
		.amdhsa_exception_int_div_zero 0
	.end_amdhsa_kernel
	.section	.text._Z15throughput_testIiEvT_S0_S0_iPi,"axG",@progbits,_Z15throughput_testIiEvT_S0_S0_iPi,comdat
.Lfunc_end1:
	.size	_Z15throughput_testIiEvT_S0_S0_iPi, .Lfunc_end1-_Z15throughput_testIiEvT_S0_S0_iPi
                                        ; -- End function
	.section	.AMDGPU.csdata,"",@progbits
; Kernel info:
; codeLenInByte = 564
; NumSgprs: 18
; NumVgprs: 13
; ScratchSize: 0
; MemoryBound: 0
; FloatMode: 240
; IeeeMode: 1
; LDSByteSize: 0 bytes/workgroup (compile time only)
; SGPRBlocks: 2
; VGPRBlocks: 1
; NumSGPRsForWavesPerEU: 18
; NumVGPRsForWavesPerEU: 13
; Occupancy: 16
; WaveLimiterHint : 0
; COMPUTE_PGM_RSRC2:SCRATCH_EN: 0
; COMPUTE_PGM_RSRC2:USER_SGPR: 15
; COMPUTE_PGM_RSRC2:TRAP_HANDLER: 0
; COMPUTE_PGM_RSRC2:TGID_X_EN: 1
; COMPUTE_PGM_RSRC2:TGID_Y_EN: 0
; COMPUTE_PGM_RSRC2:TGID_Z_EN: 0
; COMPUTE_PGM_RSRC2:TIDIG_COMP_CNT: 0
	.section	.text._Z15throughput_testI11int_fastdivEvT_S1_S1_iPi,"axG",@progbits,_Z15throughput_testI11int_fastdivEvT_S1_S1_iPi,comdat
	.protected	_Z15throughput_testI11int_fastdivEvT_S1_S1_iPi ; -- Begin function _Z15throughput_testI11int_fastdivEvT_S1_S1_iPi
	.globl	_Z15throughput_testI11int_fastdivEvT_S1_S1_iPi
	.p2align	8
	.type	_Z15throughput_testI11int_fastdivEvT_S1_S1_iPi,@function
_Z15throughput_testI11int_fastdivEvT_S1_S1_iPi: ; @_Z15throughput_testI11int_fastdivEvT_S1_S1_iPi
; %bb.0:
	s_clause 0x2
	s_load_b32 s2, s[0:1], 0x4c
	s_load_b256 s[4:11], s[0:1], 0x4
	s_load_b128 s[16:19], s[0:1], 0x24
	s_waitcnt lgkmcnt(0)
	s_and_b32 s2, s2, 0xffff
	s_cmp_lt_i32 s5, 0
	v_mad_u64_u32 v[1:2], null, s15, s2, v[0:1]
	s_cselect_b32 vcc_lo, -1, 0
	s_cmp_lt_i32 s9, 0
	s_cselect_b32 s2, -1, 0
	s_cmp_lt_i32 s17, 0
	s_delay_alu instid0(VALU_DEP_1) | instskip(SKIP_2) | instid1(VALU_DEP_3)
	v_mul_hi_i32 v0, v1, s4
	v_mul_hi_i32 v2, v1, s8
	;; [unrolled: 1-line block ×3, first 2 shown]
	v_mad_u64_u32 v[4:5], null, v1, s6, v[0:1]
	s_delay_alu instid0(VALU_DEP_2) | instskip(NEXT) | instid1(VALU_DEP_2)
	v_mad_u64_u32 v[5:6], null, v1, s10, v[2:3]
	v_mad_u64_u32 v[6:7], null, v1, s18, v[3:4]
	v_ashrrev_i32_e32 v0, s5, v4
	v_lshrrev_b32_e32 v1, 31, v4
	s_delay_alu instid0(VALU_DEP_4) | instskip(SKIP_1) | instid1(VALU_DEP_3)
	v_ashrrev_i32_e32 v2, s9, v5
	v_lshrrev_b32_e32 v3, 31, v5
	v_add_nc_u32_e32 v0, v1, v0
	v_ashrrev_i32_e32 v7, s17, v6
	v_lshrrev_b32_e32 v8, 31, v6
	s_delay_alu instid0(VALU_DEP_3) | instskip(SKIP_1) | instid1(VALU_DEP_2)
	v_dual_cndmask_b32 v0, v0, v4 :: v_dual_add_nc_u32 v1, v3, v2
	s_cselect_b32 vcc_lo, -1, 0
	v_add_nc_u32_e32 v2, v8, v7
	s_delay_alu instid0(VALU_DEP_2) | instskip(SKIP_2) | instid1(VALU_DEP_2)
	v_cndmask_b32_e64 v1, v1, v5, s2
	s_cmp_lg_u32 s19, 0
	s_cselect_b32 s2, -1, 0
	v_cndmask_b32_e32 v2, v2, v6, vcc_lo
	s_delay_alu instid0(VALU_DEP_1) | instskip(NEXT) | instid1(VALU_DEP_1)
	v_add3_u32 v0, v0, v1, v2
	v_cmp_ne_u32_e32 vcc_lo, 0, v0
	s_and_b32 s2, s2, vcc_lo
	s_delay_alu instid0(SALU_CYCLE_1)
	s_and_saveexec_b32 s3, s2
	s_cbranch_execz .LBB2_2
; %bb.1:
	s_load_b64 s[0:1], s[0:1], 0x38
	v_mov_b32_e32 v1, 0
	s_waitcnt lgkmcnt(0)
	global_store_b32 v1, v0, s[0:1]
.LBB2_2:
	s_nop 0
	s_sendmsg sendmsg(MSG_DEALLOC_VGPRS)
	s_endpgm
	.section	.rodata,"a",@progbits
	.p2align	6, 0x0
	.amdhsa_kernel _Z15throughput_testI11int_fastdivEvT_S1_S1_iPi
		.amdhsa_group_segment_fixed_size 0
		.amdhsa_private_segment_fixed_size 0
		.amdhsa_kernarg_size 320
		.amdhsa_user_sgpr_count 15
		.amdhsa_user_sgpr_dispatch_ptr 0
		.amdhsa_user_sgpr_queue_ptr 0
		.amdhsa_user_sgpr_kernarg_segment_ptr 1
		.amdhsa_user_sgpr_dispatch_id 0
		.amdhsa_user_sgpr_private_segment_size 0
		.amdhsa_wavefront_size32 1
		.amdhsa_uses_dynamic_stack 0
		.amdhsa_enable_private_segment 0
		.amdhsa_system_sgpr_workgroup_id_x 1
		.amdhsa_system_sgpr_workgroup_id_y 0
		.amdhsa_system_sgpr_workgroup_id_z 0
		.amdhsa_system_sgpr_workgroup_info 0
		.amdhsa_system_vgpr_workitem_id 0
		.amdhsa_next_free_vgpr 9
		.amdhsa_next_free_sgpr 20
		.amdhsa_reserve_vcc 1
		.amdhsa_float_round_mode_32 0
		.amdhsa_float_round_mode_16_64 0
		.amdhsa_float_denorm_mode_32 3
		.amdhsa_float_denorm_mode_16_64 3
		.amdhsa_dx10_clamp 1
		.amdhsa_ieee_mode 1
		.amdhsa_fp16_overflow 0
		.amdhsa_workgroup_processor_mode 1
		.amdhsa_memory_ordered 1
		.amdhsa_forward_progress 0
		.amdhsa_shared_vgpr_count 0
		.amdhsa_exception_fp_ieee_invalid_op 0
		.amdhsa_exception_fp_denorm_src 0
		.amdhsa_exception_fp_ieee_div_zero 0
		.amdhsa_exception_fp_ieee_overflow 0
		.amdhsa_exception_fp_ieee_underflow 0
		.amdhsa_exception_fp_ieee_inexact 0
		.amdhsa_exception_int_div_zero 0
	.end_amdhsa_kernel
	.section	.text._Z15throughput_testI11int_fastdivEvT_S1_S1_iPi,"axG",@progbits,_Z15throughput_testI11int_fastdivEvT_S1_S1_iPi,comdat
.Lfunc_end2:
	.size	_Z15throughput_testI11int_fastdivEvT_S1_S1_iPi, .Lfunc_end2-_Z15throughput_testI11int_fastdivEvT_S1_S1_iPi
                                        ; -- End function
	.section	.AMDGPU.csdata,"",@progbits
; Kernel info:
; codeLenInByte = 268
; NumSgprs: 22
; NumVgprs: 9
; ScratchSize: 0
; MemoryBound: 0
; FloatMode: 240
; IeeeMode: 1
; LDSByteSize: 0 bytes/workgroup (compile time only)
; SGPRBlocks: 2
; VGPRBlocks: 1
; NumSGPRsForWavesPerEU: 22
; NumVGPRsForWavesPerEU: 9
; Occupancy: 16
; WaveLimiterHint : 0
; COMPUTE_PGM_RSRC2:SCRATCH_EN: 0
; COMPUTE_PGM_RSRC2:USER_SGPR: 15
; COMPUTE_PGM_RSRC2:TRAP_HANDLER: 0
; COMPUTE_PGM_RSRC2:TGID_X_EN: 1
; COMPUTE_PGM_RSRC2:TGID_Y_EN: 0
; COMPUTE_PGM_RSRC2:TGID_Z_EN: 0
; COMPUTE_PGM_RSRC2:TIDIG_COMP_CNT: 0
	.section	.text._Z12latency_testIiEvT_S0_S0_S0_S0_S0_S0_S0_S0_S0_iPi,"axG",@progbits,_Z12latency_testIiEvT_S0_S0_S0_S0_S0_S0_S0_S0_S0_iPi,comdat
	.protected	_Z12latency_testIiEvT_S0_S0_S0_S0_S0_S0_S0_S0_S0_iPi ; -- Begin function _Z12latency_testIiEvT_S0_S0_S0_S0_S0_S0_S0_S0_S0_iPi
	.globl	_Z12latency_testIiEvT_S0_S0_S0_S0_S0_S0_S0_S0_S0_iPi
	.p2align	8
	.type	_Z12latency_testIiEvT_S0_S0_S0_S0_S0_S0_S0_S0_S0_iPi,@function
_Z12latency_testIiEvT_S0_S0_S0_S0_S0_S0_S0_S0_S0_iPi: ; @_Z12latency_testIiEvT_S0_S0_S0_S0_S0_S0_S0_S0_S0_iPi
; %bb.0:
	s_clause 0x1
	s_load_b256 s[4:11], s[0:1], 0x0
	s_load_b32 s3, s[0:1], 0x44
	s_waitcnt lgkmcnt(0)
	s_abs_i32 s2, s4
	s_and_b32 s3, s3, 0xffff
	v_cvt_f32_u32_e32 v1, s2
	s_sub_i32 s12, 0, s2
	s_delay_alu instid0(VALU_DEP_1) | instskip(SKIP_2) | instid1(VALU_DEP_1)
	v_rcp_iflag_f32_e32 v1, v1
	s_waitcnt_depctr 0xfff
	v_mul_f32_e32 v1, 0x4f7ffffe, v1
	v_cvt_u32_f32_e32 v3, v1
	v_mad_u64_u32 v[1:2], null, s15, s3, v[0:1]
	s_abs_i32 s3, s5
	s_delay_alu instid0(VALU_DEP_2) | instskip(NEXT) | instid1(VALU_DEP_2)
	v_mul_lo_u32 v4, s12, v3
	v_sub_nc_u32_e32 v2, 0, v1
	s_delay_alu instid0(VALU_DEP_2) | instskip(NEXT) | instid1(VALU_DEP_2)
	v_mul_hi_u32 v0, v3, v4
	v_max_i32_e32 v2, v1, v2
	v_cvt_f32_u32_e32 v4, s3
	v_xor_b32_e32 v1, s4, v1
	s_delay_alu instid0(VALU_DEP_2) | instskip(NEXT) | instid1(VALU_DEP_4)
	v_rcp_iflag_f32_e32 v4, v4
	v_add_nc_u32_e32 v0, v3, v0
	s_delay_alu instid0(VALU_DEP_2) | instskip(NEXT) | instid1(VALU_DEP_2)
	v_ashrrev_i32_e32 v1, 31, v1
	v_mul_hi_u32 v0, v2, v0
	s_delay_alu instid0(VALU_DEP_1) | instskip(NEXT) | instid1(VALU_DEP_1)
	v_mul_lo_u32 v3, v0, s2
	v_sub_nc_u32_e32 v2, v2, v3
	s_delay_alu instid0(VALU_DEP_1) | instskip(SKIP_1) | instid1(VALU_DEP_2)
	v_subrev_nc_u32_e32 v5, s2, v2
	v_cmp_le_u32_e32 vcc_lo, s2, v2
	v_dual_cndmask_b32 v2, v2, v5 :: v_dual_add_nc_u32 v3, 1, v0
	s_delay_alu instid0(TRANS32_DEP_1) | instid1(VALU_DEP_1)
	v_dual_cndmask_b32 v0, v0, v3 :: v_dual_mul_f32 v3, 0x4f7ffffe, v4
	s_delay_alu instid0(VALU_DEP_2) | instskip(NEXT) | instid1(VALU_DEP_2)
	v_cmp_le_u32_e32 vcc_lo, s2, v2
	v_add_nc_u32_e32 v4, 1, v0
	s_delay_alu instid0(VALU_DEP_3) | instskip(SKIP_1) | instid1(VALU_DEP_2)
	v_cvt_u32_f32_e32 v3, v3
	s_sub_i32 s2, 0, s3
	v_cndmask_b32_e32 v0, v0, v4, vcc_lo
	s_delay_alu instid0(VALU_DEP_2) | instskip(SKIP_1) | instid1(SALU_CYCLE_1)
	v_mul_lo_u32 v2, s2, v3
	s_abs_i32 s2, s6
	v_cvt_f32_u32_e32 v4, s2
	s_delay_alu instid0(VALU_DEP_3) | instskip(NEXT) | instid1(VALU_DEP_2)
	v_xor_b32_e32 v0, v0, v1
	v_rcp_iflag_f32_e32 v4, v4
	s_delay_alu instid0(VALU_DEP_1) | instskip(NEXT) | instid1(VALU_DEP_4)
	v_sub_nc_u32_e32 v0, v0, v1
	v_mul_hi_u32 v1, v3, v2
	s_delay_alu instid0(VALU_DEP_2) | instskip(NEXT) | instid1(VALU_DEP_2)
	v_sub_nc_u32_e32 v2, 0, v0
	v_add_nc_u32_e32 v1, v3, v1
	s_delay_alu instid0(VALU_DEP_2) | instskip(SKIP_1) | instid1(VALU_DEP_2)
	v_max_i32_e32 v2, v0, v2
	v_xor_b32_e32 v0, s5, v0
	v_mul_hi_u32 v1, v2, v1
	s_delay_alu instid0(VALU_DEP_2) | instskip(NEXT) | instid1(VALU_DEP_2)
	v_ashrrev_i32_e32 v0, 31, v0
	v_mul_lo_u32 v3, v1, s3
	s_delay_alu instid0(VALU_DEP_1) | instskip(SKIP_1) | instid1(VALU_DEP_2)
	v_sub_nc_u32_e32 v2, v2, v3
	v_add_nc_u32_e32 v3, 1, v1
	v_subrev_nc_u32_e32 v5, s3, v2
	v_cmp_le_u32_e32 vcc_lo, s3, v2
	s_delay_alu instid0(VALU_DEP_3) | instskip(NEXT) | instid1(VALU_DEP_3)
	v_cndmask_b32_e32 v1, v1, v3, vcc_lo
	v_dual_mul_f32 v3, 0x4f7ffffe, v4 :: v_dual_cndmask_b32 v2, v2, v5
	s_delay_alu instid0(VALU_DEP_2) | instskip(NEXT) | instid1(VALU_DEP_2)
	v_add_nc_u32_e32 v4, 1, v1
	v_cvt_u32_f32_e32 v3, v3
	s_delay_alu instid0(VALU_DEP_3)
	v_cmp_le_u32_e32 vcc_lo, s3, v2
	s_sub_i32 s3, 0, s2
	s_delay_alu instid0(VALU_DEP_2) | instid1(SALU_CYCLE_1)
	v_mul_lo_u32 v2, s3, v3
	v_cndmask_b32_e32 v1, v1, v4, vcc_lo
	s_abs_i32 s3, s7
	s_delay_alu instid0(SALU_CYCLE_1) | instskip(NEXT) | instid1(VALU_DEP_2)
	v_cvt_f32_u32_e32 v4, s3
	v_xor_b32_e32 v1, v1, v0
	s_delay_alu instid0(VALU_DEP_2) | instskip(NEXT) | instid1(VALU_DEP_1)
	v_rcp_iflag_f32_e32 v4, v4
	v_sub_nc_u32_e32 v0, v1, v0
	v_mul_hi_u32 v1, v3, v2
	s_delay_alu instid0(VALU_DEP_2) | instskip(NEXT) | instid1(VALU_DEP_2)
	v_sub_nc_u32_e32 v2, 0, v0
	v_add_nc_u32_e32 v1, v3, v1
	s_delay_alu instid0(VALU_DEP_2) | instskip(SKIP_1) | instid1(VALU_DEP_2)
	v_max_i32_e32 v2, v0, v2
	v_xor_b32_e32 v0, s6, v0
	v_mul_hi_u32 v1, v2, v1
	s_delay_alu instid0(VALU_DEP_2) | instskip(NEXT) | instid1(VALU_DEP_2)
	v_ashrrev_i32_e32 v0, 31, v0
	v_mul_lo_u32 v3, v1, s2
	s_delay_alu instid0(VALU_DEP_1) | instskip(SKIP_1) | instid1(VALU_DEP_2)
	v_sub_nc_u32_e32 v2, v2, v3
	v_add_nc_u32_e32 v3, 1, v1
	v_subrev_nc_u32_e32 v5, s2, v2
	v_cmp_le_u32_e32 vcc_lo, s2, v2
	s_delay_alu instid0(VALU_DEP_2) | instskip(SKIP_1) | instid1(VALU_DEP_2)
	v_dual_cndmask_b32 v2, v2, v5 :: v_dual_cndmask_b32 v1, v1, v3
	v_mul_f32_e32 v3, 0x4f7ffffe, v4
	v_cmp_le_u32_e32 vcc_lo, s2, v2
	s_delay_alu instid0(VALU_DEP_3) | instskip(NEXT) | instid1(VALU_DEP_3)
	v_add_nc_u32_e32 v4, 1, v1
	v_cvt_u32_f32_e32 v3, v3
	s_sub_i32 s2, 0, s3
	s_delay_alu instid0(VALU_DEP_2) | instskip(NEXT) | instid1(VALU_DEP_2)
	v_cndmask_b32_e32 v1, v1, v4, vcc_lo
	v_mul_lo_u32 v2, s2, v3
	s_abs_i32 s2, s8
	s_delay_alu instid0(SALU_CYCLE_1) | instskip(NEXT) | instid1(VALU_DEP_3)
	v_cvt_f32_u32_e32 v4, s2
	v_xor_b32_e32 v1, v1, v0
	s_delay_alu instid0(VALU_DEP_2) | instskip(NEXT) | instid1(VALU_DEP_1)
	v_rcp_iflag_f32_e32 v4, v4
	v_sub_nc_u32_e32 v0, v1, v0
	s_delay_alu instid0(VALU_DEP_4) | instskip(NEXT) | instid1(VALU_DEP_2)
	v_mul_hi_u32 v1, v3, v2
	v_sub_nc_u32_e32 v2, 0, v0
	s_delay_alu instid0(VALU_DEP_2) | instskip(NEXT) | instid1(VALU_DEP_2)
	v_add_nc_u32_e32 v1, v3, v1
	v_max_i32_e32 v2, v0, v2
	v_xor_b32_e32 v0, s7, v0
	s_load_b128 s[4:7], s[0:1], 0x20
	s_delay_alu instid0(VALU_DEP_2) | instskip(NEXT) | instid1(VALU_DEP_2)
	v_mul_hi_u32 v1, v2, v1
	v_ashrrev_i32_e32 v0, 31, v0
	s_delay_alu instid0(VALU_DEP_2) | instskip(NEXT) | instid1(VALU_DEP_1)
	v_mul_lo_u32 v3, v1, s3
	v_sub_nc_u32_e32 v2, v2, v3
	v_add_nc_u32_e32 v3, 1, v1
	s_delay_alu instid0(VALU_DEP_2) | instskip(SKIP_1) | instid1(VALU_DEP_2)
	v_subrev_nc_u32_e32 v5, s3, v2
	v_cmp_le_u32_e32 vcc_lo, s3, v2
	v_dual_cndmask_b32 v2, v2, v5 :: v_dual_cndmask_b32 v1, v1, v3
	v_mul_f32_e32 v3, 0x4f7ffffe, v4
	s_delay_alu instid0(VALU_DEP_2) | instskip(NEXT) | instid1(VALU_DEP_3)
	v_cmp_le_u32_e32 vcc_lo, s3, v2
	v_add_nc_u32_e32 v4, 1, v1
	s_delay_alu instid0(VALU_DEP_3) | instskip(SKIP_1) | instid1(VALU_DEP_2)
	v_cvt_u32_f32_e32 v3, v3
	s_sub_i32 s3, 0, s2
	v_cndmask_b32_e32 v1, v1, v4, vcc_lo
	s_delay_alu instid0(VALU_DEP_2) | instskip(SKIP_1) | instid1(SALU_CYCLE_1)
	v_mul_lo_u32 v2, s3, v3
	s_abs_i32 s3, s9
	v_cvt_f32_u32_e32 v4, s3
	s_delay_alu instid0(VALU_DEP_3) | instskip(NEXT) | instid1(VALU_DEP_2)
	v_xor_b32_e32 v1, v1, v0
	v_rcp_iflag_f32_e32 v4, v4
	s_delay_alu instid0(VALU_DEP_1) | instskip(NEXT) | instid1(VALU_DEP_4)
	v_sub_nc_u32_e32 v0, v1, v0
	v_mul_hi_u32 v1, v3, v2
	s_delay_alu instid0(VALU_DEP_2) | instskip(NEXT) | instid1(VALU_DEP_2)
	v_sub_nc_u32_e32 v2, 0, v0
	v_add_nc_u32_e32 v1, v3, v1
	s_delay_alu instid0(VALU_DEP_2) | instskip(SKIP_1) | instid1(VALU_DEP_2)
	v_max_i32_e32 v2, v0, v2
	v_xor_b32_e32 v0, s8, v0
	v_mul_hi_u32 v1, v2, v1
	s_delay_alu instid0(VALU_DEP_2) | instskip(NEXT) | instid1(VALU_DEP_2)
	v_ashrrev_i32_e32 v0, 31, v0
	v_mul_lo_u32 v3, v1, s2
	s_delay_alu instid0(VALU_DEP_1) | instskip(SKIP_1) | instid1(VALU_DEP_2)
	v_sub_nc_u32_e32 v2, v2, v3
	v_add_nc_u32_e32 v3, 1, v1
	v_subrev_nc_u32_e32 v5, s2, v2
	v_cmp_le_u32_e32 vcc_lo, s2, v2
	s_delay_alu instid0(VALU_DEP_2) | instskip(NEXT) | instid1(VALU_DEP_1)
	v_dual_cndmask_b32 v1, v1, v3 :: v_dual_cndmask_b32 v2, v2, v5
	v_dual_mul_f32 v3, 0x4f7ffffe, v4 :: v_dual_add_nc_u32 v4, 1, v1
	s_delay_alu instid0(VALU_DEP_2) | instskip(NEXT) | instid1(VALU_DEP_2)
	v_cmp_le_u32_e32 vcc_lo, s2, v2
	v_cvt_u32_f32_e32 v3, v3
	s_sub_i32 s2, 0, s3
	s_delay_alu instid0(VALU_DEP_3) | instskip(NEXT) | instid1(VALU_DEP_2)
	v_cndmask_b32_e32 v1, v1, v4, vcc_lo
	v_mul_lo_u32 v2, s2, v3
	s_abs_i32 s2, s10
	s_delay_alu instid0(SALU_CYCLE_1) | instskip(NEXT) | instid1(VALU_DEP_3)
	v_cvt_f32_u32_e32 v4, s2
	v_xor_b32_e32 v1, v1, v0
	s_delay_alu instid0(VALU_DEP_2) | instskip(NEXT) | instid1(VALU_DEP_1)
	v_rcp_iflag_f32_e32 v4, v4
	v_sub_nc_u32_e32 v0, v1, v0
	s_delay_alu instid0(VALU_DEP_4) | instskip(NEXT) | instid1(VALU_DEP_2)
	v_mul_hi_u32 v1, v3, v2
	v_sub_nc_u32_e32 v2, 0, v0
	s_delay_alu instid0(VALU_DEP_2) | instskip(NEXT) | instid1(VALU_DEP_2)
	v_add_nc_u32_e32 v1, v3, v1
	v_max_i32_e32 v2, v0, v2
	v_xor_b32_e32 v0, s9, v0
	s_delay_alu instid0(VALU_DEP_2) | instskip(NEXT) | instid1(VALU_DEP_2)
	v_mul_hi_u32 v1, v2, v1
	v_ashrrev_i32_e32 v0, 31, v0
	s_delay_alu instid0(VALU_DEP_2) | instskip(NEXT) | instid1(VALU_DEP_1)
	v_mul_lo_u32 v3, v1, s3
	v_sub_nc_u32_e32 v2, v2, v3
	v_add_nc_u32_e32 v3, 1, v1
	s_delay_alu instid0(VALU_DEP_2) | instskip(SKIP_1) | instid1(VALU_DEP_2)
	v_subrev_nc_u32_e32 v5, s3, v2
	v_cmp_le_u32_e32 vcc_lo, s3, v2
	v_dual_cndmask_b32 v1, v1, v3 :: v_dual_cndmask_b32 v2, v2, v5
	s_delay_alu instid0(VALU_DEP_1) | instskip(NEXT) | instid1(VALU_DEP_2)
	v_dual_mul_f32 v3, 0x4f7ffffe, v4 :: v_dual_add_nc_u32 v4, 1, v1
	v_cmp_le_u32_e32 vcc_lo, s3, v2
	s_delay_alu instid0(VALU_DEP_2) | instskip(SKIP_1) | instid1(VALU_DEP_3)
	v_cvt_u32_f32_e32 v3, v3
	s_sub_i32 s3, 0, s2
	v_cndmask_b32_e32 v1, v1, v4, vcc_lo
	s_delay_alu instid0(VALU_DEP_2) | instskip(SKIP_1) | instid1(SALU_CYCLE_1)
	v_mul_lo_u32 v2, s3, v3
	s_abs_i32 s3, s11
	v_cvt_f32_u32_e32 v4, s3
	s_delay_alu instid0(VALU_DEP_3) | instskip(NEXT) | instid1(VALU_DEP_2)
	v_xor_b32_e32 v1, v1, v0
	v_rcp_iflag_f32_e32 v4, v4
	s_delay_alu instid0(VALU_DEP_1) | instskip(NEXT) | instid1(VALU_DEP_4)
	v_sub_nc_u32_e32 v0, v1, v0
	v_mul_hi_u32 v1, v3, v2
	s_delay_alu instid0(VALU_DEP_2) | instskip(NEXT) | instid1(VALU_DEP_2)
	v_sub_nc_u32_e32 v2, 0, v0
	v_add_nc_u32_e32 v1, v3, v1
	s_delay_alu instid0(VALU_DEP_2) | instskip(SKIP_1) | instid1(VALU_DEP_2)
	v_max_i32_e32 v2, v0, v2
	v_xor_b32_e32 v0, s10, v0
	v_mul_hi_u32 v1, v2, v1
	s_delay_alu instid0(VALU_DEP_2) | instskip(NEXT) | instid1(VALU_DEP_2)
	v_ashrrev_i32_e32 v0, 31, v0
	v_mul_lo_u32 v3, v1, s2
	s_delay_alu instid0(VALU_DEP_1) | instskip(SKIP_1) | instid1(VALU_DEP_2)
	v_sub_nc_u32_e32 v2, v2, v3
	v_add_nc_u32_e32 v3, 1, v1
	v_subrev_nc_u32_e32 v5, s2, v2
	v_cmp_le_u32_e32 vcc_lo, s2, v2
	s_delay_alu instid0(VALU_DEP_2) | instskip(NEXT) | instid1(VALU_DEP_1)
	v_dual_cndmask_b32 v1, v1, v3 :: v_dual_cndmask_b32 v2, v2, v5
	v_dual_mul_f32 v3, 0x4f7ffffe, v4 :: v_dual_add_nc_u32 v4, 1, v1
	s_delay_alu instid0(VALU_DEP_2) | instskip(NEXT) | instid1(VALU_DEP_2)
	v_cmp_le_u32_e32 vcc_lo, s2, v2
	v_cvt_u32_f32_e32 v3, v3
	s_sub_i32 s2, 0, s3
	s_delay_alu instid0(VALU_DEP_3) | instskip(NEXT) | instid1(VALU_DEP_2)
	v_cndmask_b32_e32 v1, v1, v4, vcc_lo
	v_mul_lo_u32 v2, s2, v3
	s_waitcnt lgkmcnt(0)
	s_abs_i32 s2, s4
	s_delay_alu instid0(SALU_CYCLE_1) | instskip(SKIP_1) | instid1(VALU_DEP_2)
	v_cvt_f32_u32_e32 v4, s2
	v_xor_b32_e32 v1, v1, v0
	v_rcp_iflag_f32_e32 v4, v4
	s_delay_alu instid0(VALU_DEP_1) | instskip(NEXT) | instid1(VALU_DEP_4)
	v_sub_nc_u32_e32 v0, v1, v0
	v_mul_hi_u32 v1, v3, v2
	s_delay_alu instid0(VALU_DEP_2) | instskip(NEXT) | instid1(VALU_DEP_2)
	v_sub_nc_u32_e32 v2, 0, v0
	v_add_nc_u32_e32 v1, v3, v1
	s_delay_alu instid0(VALU_DEP_2) | instskip(SKIP_1) | instid1(VALU_DEP_2)
	v_max_i32_e32 v2, v0, v2
	v_xor_b32_e32 v0, s11, v0
	v_mul_hi_u32 v1, v2, v1
	s_delay_alu instid0(VALU_DEP_2) | instskip(NEXT) | instid1(VALU_DEP_2)
	v_ashrrev_i32_e32 v0, 31, v0
	v_mul_lo_u32 v3, v1, s3
	s_delay_alu instid0(VALU_DEP_1) | instskip(SKIP_1) | instid1(VALU_DEP_2)
	v_sub_nc_u32_e32 v2, v2, v3
	v_add_nc_u32_e32 v3, 1, v1
	v_subrev_nc_u32_e32 v5, s3, v2
	v_cmp_le_u32_e32 vcc_lo, s3, v2
	s_delay_alu instid0(VALU_DEP_2) | instskip(NEXT) | instid1(VALU_DEP_1)
	v_dual_cndmask_b32 v1, v1, v3 :: v_dual_cndmask_b32 v2, v2, v5
	v_dual_mul_f32 v3, 0x4f7ffffe, v4 :: v_dual_add_nc_u32 v4, 1, v1
	s_delay_alu instid0(VALU_DEP_2) | instskip(NEXT) | instid1(VALU_DEP_2)
	v_cmp_le_u32_e32 vcc_lo, s3, v2
	v_cvt_u32_f32_e32 v3, v3
	s_sub_i32 s3, 0, s2
	s_delay_alu instid0(VALU_DEP_3) | instskip(NEXT) | instid1(VALU_DEP_2)
	v_cndmask_b32_e32 v1, v1, v4, vcc_lo
	v_mul_lo_u32 v2, s3, v3
	s_abs_i32 s3, s5
	s_delay_alu instid0(SALU_CYCLE_1) | instskip(NEXT) | instid1(VALU_DEP_3)
	v_cvt_f32_u32_e32 v4, s3
	v_xor_b32_e32 v1, v1, v0
	s_delay_alu instid0(VALU_DEP_2) | instskip(NEXT) | instid1(VALU_DEP_1)
	v_rcp_iflag_f32_e32 v4, v4
	v_sub_nc_u32_e32 v0, v1, v0
	s_delay_alu instid0(VALU_DEP_4) | instskip(NEXT) | instid1(VALU_DEP_2)
	v_mul_hi_u32 v1, v3, v2
	v_sub_nc_u32_e32 v2, 0, v0
	s_delay_alu instid0(VALU_DEP_2) | instskip(NEXT) | instid1(VALU_DEP_2)
	v_add_nc_u32_e32 v1, v3, v1
	v_max_i32_e32 v2, v0, v2
	v_xor_b32_e32 v0, s4, v0
	s_delay_alu instid0(VALU_DEP_2) | instskip(NEXT) | instid1(VALU_DEP_2)
	v_mul_hi_u32 v1, v2, v1
	v_ashrrev_i32_e32 v0, 31, v0
	s_delay_alu instid0(VALU_DEP_2) | instskip(NEXT) | instid1(VALU_DEP_1)
	v_mul_lo_u32 v3, v1, s2
	v_sub_nc_u32_e32 v2, v2, v3
	v_add_nc_u32_e32 v3, 1, v1
	s_delay_alu instid0(VALU_DEP_2) | instskip(SKIP_1) | instid1(VALU_DEP_2)
	v_subrev_nc_u32_e32 v5, s2, v2
	v_cmp_le_u32_e32 vcc_lo, s2, v2
	v_dual_cndmask_b32 v1, v1, v3 :: v_dual_cndmask_b32 v2, v2, v5
	s_delay_alu instid0(VALU_DEP_1) | instskip(NEXT) | instid1(VALU_DEP_2)
	v_dual_mul_f32 v3, 0x4f7ffffe, v4 :: v_dual_add_nc_u32 v4, 1, v1
	v_cmp_le_u32_e32 vcc_lo, s2, v2
	s_delay_alu instid0(VALU_DEP_2) | instskip(SKIP_3) | instid1(VALU_DEP_2)
	v_cvt_u32_f32_e32 v3, v3
	s_sub_i32 s2, 0, s3
	s_cmp_lg_u32 s6, 0
	v_cndmask_b32_e32 v1, v1, v4, vcc_lo
	v_mul_lo_u32 v2, s2, v3
	s_cselect_b32 s2, -1, 0
	s_delay_alu instid0(VALU_DEP_2) | instskip(NEXT) | instid1(VALU_DEP_1)
	v_xor_b32_e32 v1, v1, v0
	v_sub_nc_u32_e32 v0, v1, v0
	s_delay_alu instid0(VALU_DEP_3) | instskip(NEXT) | instid1(VALU_DEP_2)
	v_mul_hi_u32 v1, v3, v2
	v_sub_nc_u32_e32 v2, 0, v0
	s_delay_alu instid0(VALU_DEP_2) | instskip(NEXT) | instid1(VALU_DEP_2)
	v_add_nc_u32_e32 v1, v3, v1
	v_max_i32_e32 v2, v0, v2
	v_xor_b32_e32 v0, s5, v0
	s_delay_alu instid0(VALU_DEP_2) | instskip(NEXT) | instid1(VALU_DEP_2)
	v_mul_hi_u32 v1, v2, v1
	v_ashrrev_i32_e32 v0, 31, v0
	s_delay_alu instid0(VALU_DEP_2) | instskip(NEXT) | instid1(VALU_DEP_1)
	v_mul_lo_u32 v3, v1, s3
	v_sub_nc_u32_e32 v2, v2, v3
	v_add_nc_u32_e32 v3, 1, v1
	s_delay_alu instid0(VALU_DEP_2) | instskip(SKIP_1) | instid1(VALU_DEP_2)
	v_subrev_nc_u32_e32 v4, s3, v2
	v_cmp_le_u32_e32 vcc_lo, s3, v2
	v_dual_cndmask_b32 v1, v1, v3 :: v_dual_cndmask_b32 v2, v2, v4
	s_delay_alu instid0(VALU_DEP_1) | instskip(NEXT) | instid1(VALU_DEP_2)
	v_add_nc_u32_e32 v3, 1, v1
	v_cmp_le_u32_e32 vcc_lo, s3, v2
	s_delay_alu instid0(VALU_DEP_2) | instskip(NEXT) | instid1(VALU_DEP_1)
	v_cndmask_b32_e32 v1, v1, v3, vcc_lo
	v_xor_b32_e32 v1, v1, v0
	s_delay_alu instid0(VALU_DEP_1) | instskip(NEXT) | instid1(VALU_DEP_1)
	v_sub_nc_u32_e32 v0, v1, v0
	v_cmp_ne_u32_e32 vcc_lo, 0, v0
	s_and_b32 s2, s2, vcc_lo
	s_delay_alu instid0(SALU_CYCLE_1)
	s_and_saveexec_b32 s3, s2
	s_cbranch_execz .LBB3_2
; %bb.1:
	s_load_b64 s[0:1], s[0:1], 0x30
	v_mov_b32_e32 v1, 0
	s_waitcnt lgkmcnt(0)
	global_store_b32 v1, v0, s[0:1]
.LBB3_2:
	s_nop 0
	s_sendmsg sendmsg(MSG_DEALLOC_VGPRS)
	s_endpgm
	.section	.rodata,"a",@progbits
	.p2align	6, 0x0
	.amdhsa_kernel _Z12latency_testIiEvT_S0_S0_S0_S0_S0_S0_S0_S0_S0_iPi
		.amdhsa_group_segment_fixed_size 0
		.amdhsa_private_segment_fixed_size 0
		.amdhsa_kernarg_size 312
		.amdhsa_user_sgpr_count 15
		.amdhsa_user_sgpr_dispatch_ptr 0
		.amdhsa_user_sgpr_queue_ptr 0
		.amdhsa_user_sgpr_kernarg_segment_ptr 1
		.amdhsa_user_sgpr_dispatch_id 0
		.amdhsa_user_sgpr_private_segment_size 0
		.amdhsa_wavefront_size32 1
		.amdhsa_uses_dynamic_stack 0
		.amdhsa_enable_private_segment 0
		.amdhsa_system_sgpr_workgroup_id_x 1
		.amdhsa_system_sgpr_workgroup_id_y 0
		.amdhsa_system_sgpr_workgroup_id_z 0
		.amdhsa_system_sgpr_workgroup_info 0
		.amdhsa_system_vgpr_workitem_id 0
		.amdhsa_next_free_vgpr 6
		.amdhsa_next_free_sgpr 16
		.amdhsa_reserve_vcc 1
		.amdhsa_float_round_mode_32 0
		.amdhsa_float_round_mode_16_64 0
		.amdhsa_float_denorm_mode_32 3
		.amdhsa_float_denorm_mode_16_64 3
		.amdhsa_dx10_clamp 1
		.amdhsa_ieee_mode 1
		.amdhsa_fp16_overflow 0
		.amdhsa_workgroup_processor_mode 1
		.amdhsa_memory_ordered 1
		.amdhsa_forward_progress 0
		.amdhsa_shared_vgpr_count 0
		.amdhsa_exception_fp_ieee_invalid_op 0
		.amdhsa_exception_fp_denorm_src 0
		.amdhsa_exception_fp_ieee_div_zero 0
		.amdhsa_exception_fp_ieee_overflow 0
		.amdhsa_exception_fp_ieee_underflow 0
		.amdhsa_exception_fp_ieee_inexact 0
		.amdhsa_exception_int_div_zero 0
	.end_amdhsa_kernel
	.section	.text._Z12latency_testIiEvT_S0_S0_S0_S0_S0_S0_S0_S0_S0_iPi,"axG",@progbits,_Z12latency_testIiEvT_S0_S0_S0_S0_S0_S0_S0_S0_S0_iPi,comdat
.Lfunc_end3:
	.size	_Z12latency_testIiEvT_S0_S0_S0_S0_S0_S0_S0_S0_S0_iPi, .Lfunc_end3-_Z12latency_testIiEvT_S0_S0_S0_S0_S0_S0_S0_S0_S0_iPi
                                        ; -- End function
	.section	.AMDGPU.csdata,"",@progbits
; Kernel info:
; codeLenInByte = 1740
; NumSgprs: 18
; NumVgprs: 6
; ScratchSize: 0
; MemoryBound: 0
; FloatMode: 240
; IeeeMode: 1
; LDSByteSize: 0 bytes/workgroup (compile time only)
; SGPRBlocks: 2
; VGPRBlocks: 0
; NumSGPRsForWavesPerEU: 18
; NumVGPRsForWavesPerEU: 6
; Occupancy: 16
; WaveLimiterHint : 0
; COMPUTE_PGM_RSRC2:SCRATCH_EN: 0
; COMPUTE_PGM_RSRC2:USER_SGPR: 15
; COMPUTE_PGM_RSRC2:TRAP_HANDLER: 0
; COMPUTE_PGM_RSRC2:TGID_X_EN: 1
; COMPUTE_PGM_RSRC2:TGID_Y_EN: 0
; COMPUTE_PGM_RSRC2:TGID_Z_EN: 0
; COMPUTE_PGM_RSRC2:TIDIG_COMP_CNT: 0
	.section	.text._Z12latency_testI11int_fastdivEvT_S1_S1_S1_S1_S1_S1_S1_S1_S1_iPi,"axG",@progbits,_Z12latency_testI11int_fastdivEvT_S1_S1_S1_S1_S1_S1_S1_S1_S1_iPi,comdat
	.protected	_Z12latency_testI11int_fastdivEvT_S1_S1_S1_S1_S1_S1_S1_S1_S1_iPi ; -- Begin function _Z12latency_testI11int_fastdivEvT_S1_S1_S1_S1_S1_S1_S1_S1_S1_iPi
	.globl	_Z12latency_testI11int_fastdivEvT_S1_S1_S1_S1_S1_S1_S1_S1_S1_iPi
	.p2align	8
	.type	_Z12latency_testI11int_fastdivEvT_S1_S1_S1_S1_S1_S1_S1_S1_S1_iPi,@function
_Z12latency_testI11int_fastdivEvT_S1_S1_S1_S1_S1_S1_S1_S1_S1_iPi: ; @_Z12latency_testI11int_fastdivEvT_S1_S1_S1_S1_S1_S1_S1_S1_S1_iPi
; %bb.0:
	s_clause 0x8
	s_load_b32 s6, s[0:1], 0x0
	s_load_b32 s7, s[0:1], 0x10
	;; [unrolled: 1-line block ×9, first 2 shown]
	s_waitcnt lgkmcnt(0)
	s_abs_i32 s10, s6
	s_delay_alu instid0(SALU_CYCLE_1) | instskip(SKIP_1) | instid1(VALU_DEP_1)
	v_cvt_f32_u32_e32 v1, s10
	s_sub_i32 s12, 0, s10
	v_rcp_iflag_f32_e32 v1, v1
	s_and_b32 s11, s11, 0xffff
	s_waitcnt_depctr 0xfff
	v_mul_f32_e32 v1, 0x4f7ffffe, v1
	s_delay_alu instid0(VALU_DEP_1) | instskip(SKIP_2) | instid1(VALU_DEP_2)
	v_cvt_u32_f32_e32 v3, v1
	v_mad_u64_u32 v[1:2], null, s15, s11, v[0:1]
	s_abs_i32 s11, s7
	v_mul_lo_u32 v4, s12, v3
	s_delay_alu instid0(VALU_DEP_2) | instskip(NEXT) | instid1(VALU_DEP_2)
	v_sub_nc_u32_e32 v2, 0, v1
	v_mul_hi_u32 v0, v3, v4
	s_delay_alu instid0(VALU_DEP_2) | instskip(SKIP_3) | instid1(VALU_DEP_2)
	v_max_i32_e32 v2, v1, v2
	v_cvt_f32_u32_e32 v4, s11
	v_xor_b32_e32 v1, s6, v1
	s_sub_i32 s6, 0, s11
	v_rcp_iflag_f32_e32 v4, v4
	s_delay_alu instid0(VALU_DEP_4) | instskip(NEXT) | instid1(VALU_DEP_2)
	v_add_nc_u32_e32 v0, v3, v0
	v_ashrrev_i32_e32 v1, 31, v1
	s_delay_alu instid0(VALU_DEP_2) | instskip(NEXT) | instid1(VALU_DEP_1)
	v_mul_hi_u32 v0, v2, v0
	v_mul_lo_u32 v3, v0, s10
	s_delay_alu instid0(VALU_DEP_1) | instskip(NEXT) | instid1(VALU_DEP_1)
	v_sub_nc_u32_e32 v2, v2, v3
	v_subrev_nc_u32_e32 v5, s10, v2
	v_cmp_le_u32_e32 vcc_lo, s10, v2
	s_delay_alu instid0(VALU_DEP_2)
	v_dual_cndmask_b32 v2, v2, v5 :: v_dual_add_nc_u32 v3, 1, v0
	s_delay_alu instid0(TRANS32_DEP_1) | instid1(VALU_DEP_1)
	v_dual_cndmask_b32 v0, v0, v3 :: v_dual_mul_f32 v3, 0x4f7ffffe, v4
	s_delay_alu instid0(VALU_DEP_2) | instskip(NEXT) | instid1(VALU_DEP_2)
	v_cmp_le_u32_e32 vcc_lo, s10, v2
	v_add_nc_u32_e32 v4, 1, v0
	s_delay_alu instid0(VALU_DEP_3) | instskip(NEXT) | instid1(VALU_DEP_2)
	v_cvt_u32_f32_e32 v3, v3
	v_cndmask_b32_e32 v0, v0, v4, vcc_lo
	s_delay_alu instid0(VALU_DEP_2) | instskip(SKIP_1) | instid1(SALU_CYCLE_1)
	v_mul_lo_u32 v2, s6, v3
	s_abs_i32 s6, s8
	v_cvt_f32_u32_e32 v4, s6
	s_delay_alu instid0(VALU_DEP_3) | instskip(NEXT) | instid1(VALU_DEP_2)
	v_xor_b32_e32 v0, v0, v1
	v_rcp_iflag_f32_e32 v4, v4
	s_delay_alu instid0(VALU_DEP_1) | instskip(NEXT) | instid1(VALU_DEP_4)
	v_sub_nc_u32_e32 v0, v0, v1
	v_mul_hi_u32 v1, v3, v2
	s_delay_alu instid0(VALU_DEP_2) | instskip(NEXT) | instid1(VALU_DEP_2)
	v_sub_nc_u32_e32 v2, 0, v0
	v_add_nc_u32_e32 v1, v3, v1
	s_delay_alu instid0(VALU_DEP_2) | instskip(SKIP_2) | instid1(VALU_DEP_2)
	v_max_i32_e32 v2, v0, v2
	v_xor_b32_e32 v0, s7, v0
	s_sub_i32 s7, 0, s6
	v_mul_hi_u32 v1, v2, v1
	s_delay_alu instid0(VALU_DEP_2) | instskip(NEXT) | instid1(VALU_DEP_2)
	v_ashrrev_i32_e32 v0, 31, v0
	v_mul_lo_u32 v3, v1, s11
	s_delay_alu instid0(VALU_DEP_1) | instskip(SKIP_1) | instid1(VALU_DEP_2)
	v_sub_nc_u32_e32 v2, v2, v3
	v_add_nc_u32_e32 v3, 1, v1
	v_subrev_nc_u32_e32 v5, s11, v2
	v_cmp_le_u32_e32 vcc_lo, s11, v2
	s_delay_alu instid0(VALU_DEP_3) | instskip(NEXT) | instid1(VALU_DEP_3)
	v_cndmask_b32_e32 v1, v1, v3, vcc_lo
	v_dual_mul_f32 v3, 0x4f7ffffe, v4 :: v_dual_cndmask_b32 v2, v2, v5
	s_delay_alu instid0(VALU_DEP_2) | instskip(NEXT) | instid1(VALU_DEP_2)
	v_add_nc_u32_e32 v4, 1, v1
	v_cvt_u32_f32_e32 v3, v3
	s_delay_alu instid0(VALU_DEP_3) | instskip(NEXT) | instid1(VALU_DEP_2)
	v_cmp_le_u32_e32 vcc_lo, s11, v2
	v_mul_lo_u32 v2, s7, v3
	s_delay_alu instid0(VALU_DEP_4) | instskip(SKIP_1) | instid1(SALU_CYCLE_1)
	v_cndmask_b32_e32 v1, v1, v4, vcc_lo
	s_abs_i32 s7, s9
	v_cvt_f32_u32_e32 v4, s7
	s_delay_alu instid0(VALU_DEP_2) | instskip(NEXT) | instid1(VALU_DEP_2)
	v_xor_b32_e32 v1, v1, v0
	v_rcp_iflag_f32_e32 v4, v4
	s_delay_alu instid0(VALU_DEP_1) | instskip(SKIP_1) | instid1(VALU_DEP_2)
	v_sub_nc_u32_e32 v0, v1, v0
	v_mul_hi_u32 v1, v3, v2
	v_sub_nc_u32_e32 v2, 0, v0
	s_delay_alu instid0(VALU_DEP_2) | instskip(NEXT) | instid1(VALU_DEP_2)
	v_add_nc_u32_e32 v1, v3, v1
	v_max_i32_e32 v2, v0, v2
	v_xor_b32_e32 v0, s8, v0
	s_delay_alu instid0(VALU_DEP_2) | instskip(NEXT) | instid1(VALU_DEP_2)
	v_mul_hi_u32 v1, v2, v1
	v_ashrrev_i32_e32 v0, 31, v0
	s_delay_alu instid0(VALU_DEP_2) | instskip(NEXT) | instid1(VALU_DEP_1)
	v_mul_lo_u32 v3, v1, s6
	v_sub_nc_u32_e32 v2, v2, v3
	v_add_nc_u32_e32 v3, 1, v1
	s_delay_alu instid0(VALU_DEP_2) | instskip(SKIP_1) | instid1(VALU_DEP_2)
	v_subrev_nc_u32_e32 v5, s6, v2
	v_cmp_le_u32_e32 vcc_lo, s6, v2
	v_dual_cndmask_b32 v2, v2, v5 :: v_dual_cndmask_b32 v1, v1, v3
	v_mul_f32_e32 v3, 0x4f7ffffe, v4
	s_delay_alu instid0(VALU_DEP_2) | instskip(NEXT) | instid1(VALU_DEP_3)
	v_cmp_le_u32_e32 vcc_lo, s6, v2
	v_add_nc_u32_e32 v4, 1, v1
	s_delay_alu instid0(VALU_DEP_3) | instskip(SKIP_1) | instid1(VALU_DEP_2)
	v_cvt_u32_f32_e32 v3, v3
	s_sub_i32 s6, 0, s7
	v_cndmask_b32_e32 v1, v1, v4, vcc_lo
	s_delay_alu instid0(VALU_DEP_2) | instskip(SKIP_1) | instid1(SALU_CYCLE_1)
	v_mul_lo_u32 v2, s6, v3
	s_abs_i32 s6, s5
	v_cvt_f32_u32_e32 v4, s6
	s_delay_alu instid0(VALU_DEP_3) | instskip(NEXT) | instid1(VALU_DEP_2)
	v_xor_b32_e32 v1, v1, v0
	v_rcp_iflag_f32_e32 v4, v4
	s_delay_alu instid0(VALU_DEP_1) | instskip(NEXT) | instid1(VALU_DEP_4)
	v_sub_nc_u32_e32 v0, v1, v0
	v_mul_hi_u32 v1, v3, v2
	s_delay_alu instid0(VALU_DEP_2) | instskip(NEXT) | instid1(VALU_DEP_2)
	v_sub_nc_u32_e32 v2, 0, v0
	v_add_nc_u32_e32 v1, v3, v1
	s_delay_alu instid0(VALU_DEP_2) | instskip(SKIP_1) | instid1(VALU_DEP_2)
	v_max_i32_e32 v2, v0, v2
	v_xor_b32_e32 v0, s9, v0
	v_mul_hi_u32 v1, v2, v1
	s_delay_alu instid0(VALU_DEP_2) | instskip(NEXT) | instid1(VALU_DEP_2)
	v_ashrrev_i32_e32 v0, 31, v0
	v_mul_lo_u32 v3, v1, s7
	s_delay_alu instid0(VALU_DEP_1) | instskip(SKIP_1) | instid1(VALU_DEP_2)
	v_sub_nc_u32_e32 v2, v2, v3
	v_add_nc_u32_e32 v3, 1, v1
	v_subrev_nc_u32_e32 v5, s7, v2
	v_cmp_le_u32_e32 vcc_lo, s7, v2
	s_delay_alu instid0(VALU_DEP_2) | instskip(SKIP_1) | instid1(VALU_DEP_2)
	v_dual_cndmask_b32 v2, v2, v5 :: v_dual_cndmask_b32 v1, v1, v3
	v_mul_f32_e32 v3, 0x4f7ffffe, v4
	v_cmp_le_u32_e32 vcc_lo, s7, v2
	s_delay_alu instid0(VALU_DEP_3) | instskip(NEXT) | instid1(VALU_DEP_3)
	v_add_nc_u32_e32 v4, 1, v1
	v_cvt_u32_f32_e32 v3, v3
	s_sub_i32 s7, 0, s6
	s_delay_alu instid0(VALU_DEP_2) | instskip(NEXT) | instid1(VALU_DEP_2)
	v_cndmask_b32_e32 v1, v1, v4, vcc_lo
	v_mul_lo_u32 v2, s7, v3
	s_abs_i32 s7, s4
	s_delay_alu instid0(SALU_CYCLE_1) | instskip(NEXT) | instid1(VALU_DEP_3)
	v_cvt_f32_u32_e32 v4, s7
	v_xor_b32_e32 v1, v1, v0
	s_delay_alu instid0(VALU_DEP_2) | instskip(NEXT) | instid1(VALU_DEP_1)
	v_rcp_iflag_f32_e32 v4, v4
	v_sub_nc_u32_e32 v0, v1, v0
	s_delay_alu instid0(VALU_DEP_4) | instskip(NEXT) | instid1(VALU_DEP_2)
	v_mul_hi_u32 v1, v3, v2
	v_sub_nc_u32_e32 v2, 0, v0
	s_delay_alu instid0(VALU_DEP_2) | instskip(NEXT) | instid1(VALU_DEP_2)
	v_add_nc_u32_e32 v1, v3, v1
	v_max_i32_e32 v2, v0, v2
	v_xor_b32_e32 v0, s5, v0
	s_sub_i32 s5, 0, s7
	s_delay_alu instid0(VALU_DEP_2) | instskip(NEXT) | instid1(VALU_DEP_2)
	v_mul_hi_u32 v1, v2, v1
	v_ashrrev_i32_e32 v0, 31, v0
	s_delay_alu instid0(VALU_DEP_2) | instskip(NEXT) | instid1(VALU_DEP_1)
	v_mul_lo_u32 v3, v1, s6
	v_sub_nc_u32_e32 v2, v2, v3
	v_add_nc_u32_e32 v3, 1, v1
	s_delay_alu instid0(VALU_DEP_2) | instskip(SKIP_1) | instid1(VALU_DEP_2)
	v_subrev_nc_u32_e32 v5, s6, v2
	v_cmp_le_u32_e32 vcc_lo, s6, v2
	v_dual_cndmask_b32 v1, v1, v3 :: v_dual_cndmask_b32 v2, v2, v5
	s_delay_alu instid0(VALU_DEP_1) | instskip(NEXT) | instid1(VALU_DEP_2)
	v_dual_mul_f32 v3, 0x4f7ffffe, v4 :: v_dual_add_nc_u32 v4, 1, v1
	v_cmp_le_u32_e32 vcc_lo, s6, v2
	s_delay_alu instid0(VALU_DEP_2) | instskip(NEXT) | instid1(VALU_DEP_3)
	v_cvt_u32_f32_e32 v3, v3
	v_cndmask_b32_e32 v1, v1, v4, vcc_lo
	s_delay_alu instid0(VALU_DEP_2) | instskip(SKIP_1) | instid1(SALU_CYCLE_1)
	v_mul_lo_u32 v2, s5, v3
	s_abs_i32 s5, s3
	v_cvt_f32_u32_e32 v4, s5
	s_delay_alu instid0(VALU_DEP_3) | instskip(NEXT) | instid1(VALU_DEP_2)
	v_xor_b32_e32 v1, v1, v0
	v_rcp_iflag_f32_e32 v4, v4
	s_delay_alu instid0(VALU_DEP_1) | instskip(NEXT) | instid1(VALU_DEP_4)
	v_sub_nc_u32_e32 v0, v1, v0
	v_mul_hi_u32 v1, v3, v2
	s_delay_alu instid0(VALU_DEP_2) | instskip(NEXT) | instid1(VALU_DEP_2)
	v_sub_nc_u32_e32 v2, 0, v0
	v_add_nc_u32_e32 v1, v3, v1
	s_delay_alu instid0(VALU_DEP_2) | instskip(SKIP_2) | instid1(VALU_DEP_2)
	v_max_i32_e32 v2, v0, v2
	v_xor_b32_e32 v0, s4, v0
	s_sub_i32 s4, 0, s5
	v_mul_hi_u32 v1, v2, v1
	s_delay_alu instid0(VALU_DEP_2) | instskip(NEXT) | instid1(VALU_DEP_2)
	v_ashrrev_i32_e32 v0, 31, v0
	v_mul_lo_u32 v3, v1, s7
	s_delay_alu instid0(VALU_DEP_1) | instskip(SKIP_1) | instid1(VALU_DEP_2)
	v_sub_nc_u32_e32 v2, v2, v3
	v_add_nc_u32_e32 v3, 1, v1
	v_subrev_nc_u32_e32 v5, s7, v2
	v_cmp_le_u32_e32 vcc_lo, s7, v2
	s_delay_alu instid0(VALU_DEP_2) | instskip(NEXT) | instid1(VALU_DEP_1)
	v_dual_cndmask_b32 v1, v1, v3 :: v_dual_cndmask_b32 v2, v2, v5
	v_dual_mul_f32 v3, 0x4f7ffffe, v4 :: v_dual_add_nc_u32 v4, 1, v1
	s_delay_alu instid0(VALU_DEP_2) | instskip(NEXT) | instid1(VALU_DEP_2)
	v_cmp_le_u32_e32 vcc_lo, s7, v2
	v_cvt_u32_f32_e32 v3, v3
	s_delay_alu instid0(VALU_DEP_3) | instskip(NEXT) | instid1(VALU_DEP_2)
	v_cndmask_b32_e32 v1, v1, v4, vcc_lo
	v_mul_lo_u32 v2, s4, v3
	s_abs_i32 s4, s2
	s_delay_alu instid0(SALU_CYCLE_1) | instskip(NEXT) | instid1(VALU_DEP_3)
	v_cvt_f32_u32_e32 v4, s4
	v_xor_b32_e32 v1, v1, v0
	s_delay_alu instid0(VALU_DEP_2) | instskip(NEXT) | instid1(VALU_DEP_1)
	v_rcp_iflag_f32_e32 v4, v4
	v_sub_nc_u32_e32 v0, v1, v0
	s_delay_alu instid0(VALU_DEP_4) | instskip(NEXT) | instid1(VALU_DEP_2)
	v_mul_hi_u32 v1, v3, v2
	v_sub_nc_u32_e32 v2, 0, v0
	s_delay_alu instid0(VALU_DEP_2) | instskip(NEXT) | instid1(VALU_DEP_2)
	v_add_nc_u32_e32 v1, v3, v1
	v_max_i32_e32 v2, v0, v2
	v_xor_b32_e32 v0, s3, v0
	s_sub_i32 s3, 0, s4
	s_delay_alu instid0(VALU_DEP_2) | instskip(NEXT) | instid1(VALU_DEP_2)
	v_mul_hi_u32 v1, v2, v1
	v_ashrrev_i32_e32 v0, 31, v0
	s_delay_alu instid0(VALU_DEP_2) | instskip(NEXT) | instid1(VALU_DEP_1)
	v_mul_lo_u32 v3, v1, s5
	v_sub_nc_u32_e32 v2, v2, v3
	v_add_nc_u32_e32 v3, 1, v1
	s_delay_alu instid0(VALU_DEP_2) | instskip(SKIP_1) | instid1(VALU_DEP_2)
	v_subrev_nc_u32_e32 v5, s5, v2
	v_cmp_le_u32_e32 vcc_lo, s5, v2
	v_dual_cndmask_b32 v1, v1, v3 :: v_dual_cndmask_b32 v2, v2, v5
	s_delay_alu instid0(VALU_DEP_1) | instskip(NEXT) | instid1(VALU_DEP_2)
	v_dual_mul_f32 v3, 0x4f7ffffe, v4 :: v_dual_add_nc_u32 v4, 1, v1
	v_cmp_le_u32_e32 vcc_lo, s5, v2
	s_delay_alu instid0(VALU_DEP_2) | instskip(SKIP_1) | instid1(VALU_DEP_3)
	v_cvt_u32_f32_e32 v3, v3
	s_load_b32 s5, s[0:1], 0x90
	v_cndmask_b32_e32 v1, v1, v4, vcc_lo
	s_delay_alu instid0(VALU_DEP_2) | instskip(SKIP_1) | instid1(VALU_DEP_2)
	v_mul_lo_u32 v2, s3, v3
	s_load_b32 s3, s[0:1], 0x80
	v_xor_b32_e32 v1, v1, v0
	s_delay_alu instid0(VALU_DEP_1) | instskip(NEXT) | instid1(VALU_DEP_3)
	v_sub_nc_u32_e32 v0, v1, v0
	v_mul_hi_u32 v1, v3, v2
	s_delay_alu instid0(VALU_DEP_2) | instskip(NEXT) | instid1(VALU_DEP_2)
	v_sub_nc_u32_e32 v2, 0, v0
	v_add_nc_u32_e32 v1, v3, v1
	s_delay_alu instid0(VALU_DEP_2) | instskip(SKIP_3) | instid1(SALU_CYCLE_1)
	v_max_i32_e32 v2, v0, v2
	v_xor_b32_e32 v0, s2, v0
	s_waitcnt lgkmcnt(0)
	s_abs_i32 s6, s3
	v_cvt_f32_u32_e32 v4, s6
	v_mul_hi_u32 v1, v2, v1
	v_ashrrev_i32_e32 v0, 31, v0
	s_sub_i32 s2, 0, s6
	s_delay_alu instid0(VALU_DEP_3) | instskip(NEXT) | instid1(VALU_DEP_2)
	v_rcp_iflag_f32_e32 v4, v4
	v_mul_lo_u32 v3, v1, s4
	s_delay_alu instid0(VALU_DEP_1) | instskip(SKIP_1) | instid1(VALU_DEP_2)
	v_sub_nc_u32_e32 v2, v2, v3
	v_add_nc_u32_e32 v3, 1, v1
	v_subrev_nc_u32_e32 v5, s4, v2
	v_cmp_le_u32_e32 vcc_lo, s4, v2
	s_delay_alu instid0(VALU_DEP_2)
	v_dual_cndmask_b32 v1, v1, v3 :: v_dual_cndmask_b32 v2, v2, v5
	s_delay_alu instid0(TRANS32_DEP_1) | instid1(VALU_DEP_1)
	v_dual_mul_f32 v3, 0x4f7ffffe, v4 :: v_dual_add_nc_u32 v4, 1, v1
	s_delay_alu instid0(VALU_DEP_2) | instskip(NEXT) | instid1(VALU_DEP_2)
	v_cmp_le_u32_e32 vcc_lo, s4, v2
	v_cvt_u32_f32_e32 v3, v3
	s_delay_alu instid0(VALU_DEP_3) | instskip(NEXT) | instid1(VALU_DEP_2)
	v_cndmask_b32_e32 v1, v1, v4, vcc_lo
	v_mul_lo_u32 v2, s2, v3
	s_abs_i32 s2, s5
	s_delay_alu instid0(SALU_CYCLE_1) | instskip(NEXT) | instid1(VALU_DEP_3)
	v_cvt_f32_u32_e32 v4, s2
	v_xor_b32_e32 v1, v1, v0
	s_delay_alu instid0(VALU_DEP_2) | instskip(NEXT) | instid1(VALU_DEP_1)
	v_rcp_iflag_f32_e32 v4, v4
	v_sub_nc_u32_e32 v0, v1, v0
	s_delay_alu instid0(VALU_DEP_4) | instskip(NEXT) | instid1(VALU_DEP_2)
	v_mul_hi_u32 v1, v3, v2
	v_sub_nc_u32_e32 v2, 0, v0
	s_delay_alu instid0(VALU_DEP_2) | instskip(NEXT) | instid1(VALU_DEP_2)
	v_add_nc_u32_e32 v1, v3, v1
	v_max_i32_e32 v2, v0, v2
	v_xor_b32_e32 v0, s3, v0
	s_sub_i32 s3, 0, s2
	s_delay_alu instid0(VALU_DEP_2) | instskip(NEXT) | instid1(VALU_DEP_2)
	v_mul_hi_u32 v1, v2, v1
	v_ashrrev_i32_e32 v0, 31, v0
	s_delay_alu instid0(VALU_DEP_2) | instskip(NEXT) | instid1(VALU_DEP_1)
	v_mul_lo_u32 v3, v1, s6
	v_sub_nc_u32_e32 v2, v2, v3
	v_add_nc_u32_e32 v3, 1, v1
	s_delay_alu instid0(VALU_DEP_2) | instskip(SKIP_1) | instid1(VALU_DEP_2)
	v_subrev_nc_u32_e32 v5, s6, v2
	v_cmp_le_u32_e32 vcc_lo, s6, v2
	v_dual_cndmask_b32 v1, v1, v3 :: v_dual_cndmask_b32 v2, v2, v5
	s_delay_alu instid0(VALU_DEP_1) | instskip(NEXT) | instid1(VALU_DEP_2)
	v_dual_mul_f32 v3, 0x4f7ffffe, v4 :: v_dual_add_nc_u32 v4, 1, v1
	v_cmp_le_u32_e32 vcc_lo, s6, v2
	s_delay_alu instid0(VALU_DEP_2) | instskip(NEXT) | instid1(VALU_DEP_3)
	v_cvt_u32_f32_e32 v3, v3
	v_cndmask_b32_e32 v1, v1, v4, vcc_lo
	s_delay_alu instid0(VALU_DEP_2) | instskip(SKIP_1) | instid1(VALU_DEP_2)
	v_mul_lo_u32 v2, s3, v3
	s_load_b32 s3, s[0:1], 0xa0
	v_xor_b32_e32 v1, v1, v0
	s_delay_alu instid0(VALU_DEP_1) | instskip(NEXT) | instid1(VALU_DEP_3)
	v_sub_nc_u32_e32 v0, v1, v0
	v_mul_hi_u32 v1, v3, v2
	s_delay_alu instid0(VALU_DEP_2) | instskip(NEXT) | instid1(VALU_DEP_2)
	v_sub_nc_u32_e32 v2, 0, v0
	v_add_nc_u32_e32 v1, v3, v1
	s_delay_alu instid0(VALU_DEP_2) | instskip(SKIP_3) | instid1(VALU_DEP_2)
	v_max_i32_e32 v2, v0, v2
	v_xor_b32_e32 v0, s5, v0
	s_waitcnt lgkmcnt(0)
	s_cmp_lg_u32 s3, 0
	v_mul_hi_u32 v1, v2, v1
	s_delay_alu instid0(VALU_DEP_2) | instskip(NEXT) | instid1(VALU_DEP_2)
	v_ashrrev_i32_e32 v0, 31, v0
	v_mul_lo_u32 v3, v1, s2
	s_delay_alu instid0(VALU_DEP_1) | instskip(SKIP_1) | instid1(VALU_DEP_2)
	v_sub_nc_u32_e32 v2, v2, v3
	v_add_nc_u32_e32 v3, 1, v1
	v_subrev_nc_u32_e32 v4, s2, v2
	v_cmp_le_u32_e32 vcc_lo, s2, v2
	s_delay_alu instid0(VALU_DEP_2) | instskip(NEXT) | instid1(VALU_DEP_1)
	v_dual_cndmask_b32 v1, v1, v3 :: v_dual_cndmask_b32 v2, v2, v4
	v_add_nc_u32_e32 v3, 1, v1
	s_delay_alu instid0(VALU_DEP_2) | instskip(SKIP_1) | instid1(VALU_DEP_2)
	v_cmp_le_u32_e32 vcc_lo, s2, v2
	s_cselect_b32 s2, -1, 0
	v_cndmask_b32_e32 v1, v1, v3, vcc_lo
	s_delay_alu instid0(VALU_DEP_1) | instskip(NEXT) | instid1(VALU_DEP_1)
	v_xor_b32_e32 v1, v1, v0
	v_sub_nc_u32_e32 v0, v1, v0
	s_delay_alu instid0(VALU_DEP_1) | instskip(SKIP_1) | instid1(SALU_CYCLE_1)
	v_cmp_ne_u32_e32 vcc_lo, 0, v0
	s_and_b32 s2, s2, vcc_lo
	s_and_saveexec_b32 s3, s2
	s_cbranch_execz .LBB4_2
; %bb.1:
	s_load_b64 s[0:1], s[0:1], 0xa8
	v_mov_b32_e32 v1, 0
	s_waitcnt lgkmcnt(0)
	global_store_b32 v1, v0, s[0:1]
.LBB4_2:
	s_nop 0
	s_sendmsg sendmsg(MSG_DEALLOC_VGPRS)
	s_endpgm
	.section	.rodata,"a",@progbits
	.p2align	6, 0x0
	.amdhsa_kernel _Z12latency_testI11int_fastdivEvT_S1_S1_S1_S1_S1_S1_S1_S1_S1_iPi
		.amdhsa_group_segment_fixed_size 0
		.amdhsa_private_segment_fixed_size 0
		.amdhsa_kernarg_size 432
		.amdhsa_user_sgpr_count 15
		.amdhsa_user_sgpr_dispatch_ptr 0
		.amdhsa_user_sgpr_queue_ptr 0
		.amdhsa_user_sgpr_kernarg_segment_ptr 1
		.amdhsa_user_sgpr_dispatch_id 0
		.amdhsa_user_sgpr_private_segment_size 0
		.amdhsa_wavefront_size32 1
		.amdhsa_uses_dynamic_stack 0
		.amdhsa_enable_private_segment 0
		.amdhsa_system_sgpr_workgroup_id_x 1
		.amdhsa_system_sgpr_workgroup_id_y 0
		.amdhsa_system_sgpr_workgroup_id_z 0
		.amdhsa_system_sgpr_workgroup_info 0
		.amdhsa_system_vgpr_workitem_id 0
		.amdhsa_next_free_vgpr 6
		.amdhsa_next_free_sgpr 16
		.amdhsa_reserve_vcc 1
		.amdhsa_float_round_mode_32 0
		.amdhsa_float_round_mode_16_64 0
		.amdhsa_float_denorm_mode_32 3
		.amdhsa_float_denorm_mode_16_64 3
		.amdhsa_dx10_clamp 1
		.amdhsa_ieee_mode 1
		.amdhsa_fp16_overflow 0
		.amdhsa_workgroup_processor_mode 1
		.amdhsa_memory_ordered 1
		.amdhsa_forward_progress 0
		.amdhsa_shared_vgpr_count 0
		.amdhsa_exception_fp_ieee_invalid_op 0
		.amdhsa_exception_fp_denorm_src 0
		.amdhsa_exception_fp_ieee_div_zero 0
		.amdhsa_exception_fp_ieee_overflow 0
		.amdhsa_exception_fp_ieee_underflow 0
		.amdhsa_exception_fp_ieee_inexact 0
		.amdhsa_exception_int_div_zero 0
	.end_amdhsa_kernel
	.section	.text._Z12latency_testI11int_fastdivEvT_S1_S1_S1_S1_S1_S1_S1_S1_S1_iPi,"axG",@progbits,_Z12latency_testI11int_fastdivEvT_S1_S1_S1_S1_S1_S1_S1_S1_S1_iPi,comdat
.Lfunc_end4:
	.size	_Z12latency_testI11int_fastdivEvT_S1_S1_S1_S1_S1_S1_S1_S1_S1_iPi, .Lfunc_end4-_Z12latency_testI11int_fastdivEvT_S1_S1_S1_S1_S1_S1_S1_S1_S1_iPi
                                        ; -- End function
	.section	.AMDGPU.csdata,"",@progbits
; Kernel info:
; codeLenInByte = 1820
; NumSgprs: 18
; NumVgprs: 6
; ScratchSize: 0
; MemoryBound: 0
; FloatMode: 240
; IeeeMode: 1
; LDSByteSize: 0 bytes/workgroup (compile time only)
; SGPRBlocks: 2
; VGPRBlocks: 0
; NumSGPRsForWavesPerEU: 18
; NumVGPRsForWavesPerEU: 6
; Occupancy: 16
; WaveLimiterHint : 1
; COMPUTE_PGM_RSRC2:SCRATCH_EN: 0
; COMPUTE_PGM_RSRC2:USER_SGPR: 15
; COMPUTE_PGM_RSRC2:TRAP_HANDLER: 0
; COMPUTE_PGM_RSRC2:TGID_X_EN: 1
; COMPUTE_PGM_RSRC2:TGID_Y_EN: 0
; COMPUTE_PGM_RSRC2:TGID_Z_EN: 0
; COMPUTE_PGM_RSRC2:TIDIG_COMP_CNT: 0
	.text
	.p2alignl 7, 3214868480
	.fill 96, 4, 3214868480
	.type	__hip_cuid_f2ea9056c3ac4b1f,@object ; @__hip_cuid_f2ea9056c3ac4b1f
	.section	.bss,"aw",@nobits
	.globl	__hip_cuid_f2ea9056c3ac4b1f
__hip_cuid_f2ea9056c3ac4b1f:
	.byte	0                               ; 0x0
	.size	__hip_cuid_f2ea9056c3ac4b1f, 1

	.ident	"AMD clang version 19.0.0git (https://github.com/RadeonOpenCompute/llvm-project roc-6.4.0 25133 c7fe45cf4b819c5991fe208aaa96edf142730f1d)"
	.section	".note.GNU-stack","",@progbits
	.addrsig
	.addrsig_sym __hip_cuid_f2ea9056c3ac4b1f
	.amdgpu_metadata
---
amdhsa.kernels:
  - .args:
      - .offset:         0
        .size:           16
        .value_kind:     by_value
      - .address_space:  global
        .offset:         16
        .size:           8
        .value_kind:     global_buffer
      - .offset:         24
        .size:           4
        .value_kind:     hidden_block_count_x
      - .offset:         28
        .size:           4
        .value_kind:     hidden_block_count_y
      - .offset:         32
        .size:           4
        .value_kind:     hidden_block_count_z
      - .offset:         36
        .size:           2
        .value_kind:     hidden_group_size_x
      - .offset:         38
        .size:           2
        .value_kind:     hidden_group_size_y
      - .offset:         40
        .size:           2
        .value_kind:     hidden_group_size_z
      - .offset:         42
        .size:           2
        .value_kind:     hidden_remainder_x
      - .offset:         44
        .size:           2
        .value_kind:     hidden_remainder_y
      - .offset:         46
        .size:           2
        .value_kind:     hidden_remainder_z
      - .offset:         64
        .size:           8
        .value_kind:     hidden_global_offset_x
      - .offset:         72
        .size:           8
        .value_kind:     hidden_global_offset_y
      - .offset:         80
        .size:           8
        .value_kind:     hidden_global_offset_z
      - .offset:         88
        .size:           2
        .value_kind:     hidden_grid_dims
    .group_segment_fixed_size: 0
    .kernarg_segment_align: 8
    .kernarg_segment_size: 280
    .language:       OpenCL C
    .language_version:
      - 2
      - 0
    .max_flat_workgroup_size: 1024
    .name:           _Z5check11int_fastdivPi
    .private_segment_fixed_size: 0
    .sgpr_count:     18
    .sgpr_spill_count: 0
    .symbol:         _Z5check11int_fastdivPi.kd
    .uniform_work_group_size: 1
    .uses_dynamic_stack: false
    .vgpr_count:     10
    .vgpr_spill_count: 0
    .wavefront_size: 32
    .workgroup_processor_mode: 1
  - .args:
      - .offset:         0
        .size:           4
        .value_kind:     by_value
      - .offset:         4
        .size:           4
        .value_kind:     by_value
      - .offset:         8
        .size:           4
        .value_kind:     by_value
      - .offset:         12
        .size:           4
        .value_kind:     by_value
      - .address_space:  global
        .offset:         16
        .size:           8
        .value_kind:     global_buffer
      - .offset:         24
        .size:           4
        .value_kind:     hidden_block_count_x
      - .offset:         28
        .size:           4
        .value_kind:     hidden_block_count_y
      - .offset:         32
        .size:           4
        .value_kind:     hidden_block_count_z
      - .offset:         36
        .size:           2
        .value_kind:     hidden_group_size_x
      - .offset:         38
        .size:           2
        .value_kind:     hidden_group_size_y
      - .offset:         40
        .size:           2
        .value_kind:     hidden_group_size_z
      - .offset:         42
        .size:           2
        .value_kind:     hidden_remainder_x
      - .offset:         44
        .size:           2
        .value_kind:     hidden_remainder_y
      - .offset:         46
        .size:           2
        .value_kind:     hidden_remainder_z
      - .offset:         64
        .size:           8
        .value_kind:     hidden_global_offset_x
      - .offset:         72
        .size:           8
        .value_kind:     hidden_global_offset_y
      - .offset:         80
        .size:           8
        .value_kind:     hidden_global_offset_z
      - .offset:         88
        .size:           2
        .value_kind:     hidden_grid_dims
    .group_segment_fixed_size: 0
    .kernarg_segment_align: 8
    .kernarg_segment_size: 280
    .language:       OpenCL C
    .language_version:
      - 2
      - 0
    .max_flat_workgroup_size: 1024
    .name:           _Z15throughput_testIiEvT_S0_S0_iPi
    .private_segment_fixed_size: 0
    .sgpr_count:     18
    .sgpr_spill_count: 0
    .symbol:         _Z15throughput_testIiEvT_S0_S0_iPi.kd
    .uniform_work_group_size: 1
    .uses_dynamic_stack: false
    .vgpr_count:     13
    .vgpr_spill_count: 0
    .wavefront_size: 32
    .workgroup_processor_mode: 1
  - .args:
      - .offset:         0
        .size:           16
        .value_kind:     by_value
      - .offset:         16
        .size:           16
        .value_kind:     by_value
      - .offset:         32
        .size:           16
        .value_kind:     by_value
      - .offset:         48
        .size:           4
        .value_kind:     by_value
      - .address_space:  global
        .offset:         56
        .size:           8
        .value_kind:     global_buffer
      - .offset:         64
        .size:           4
        .value_kind:     hidden_block_count_x
      - .offset:         68
        .size:           4
        .value_kind:     hidden_block_count_y
      - .offset:         72
        .size:           4
        .value_kind:     hidden_block_count_z
      - .offset:         76
        .size:           2
        .value_kind:     hidden_group_size_x
      - .offset:         78
        .size:           2
        .value_kind:     hidden_group_size_y
      - .offset:         80
        .size:           2
        .value_kind:     hidden_group_size_z
      - .offset:         82
        .size:           2
        .value_kind:     hidden_remainder_x
      - .offset:         84
        .size:           2
        .value_kind:     hidden_remainder_y
      - .offset:         86
        .size:           2
        .value_kind:     hidden_remainder_z
      - .offset:         104
        .size:           8
        .value_kind:     hidden_global_offset_x
      - .offset:         112
        .size:           8
        .value_kind:     hidden_global_offset_y
      - .offset:         120
        .size:           8
        .value_kind:     hidden_global_offset_z
      - .offset:         128
        .size:           2
        .value_kind:     hidden_grid_dims
    .group_segment_fixed_size: 0
    .kernarg_segment_align: 8
    .kernarg_segment_size: 320
    .language:       OpenCL C
    .language_version:
      - 2
      - 0
    .max_flat_workgroup_size: 1024
    .name:           _Z15throughput_testI11int_fastdivEvT_S1_S1_iPi
    .private_segment_fixed_size: 0
    .sgpr_count:     22
    .sgpr_spill_count: 0
    .symbol:         _Z15throughput_testI11int_fastdivEvT_S1_S1_iPi.kd
    .uniform_work_group_size: 1
    .uses_dynamic_stack: false
    .vgpr_count:     9
    .vgpr_spill_count: 0
    .wavefront_size: 32
    .workgroup_processor_mode: 1
  - .args:
      - .offset:         0
        .size:           4
        .value_kind:     by_value
      - .offset:         4
        .size:           4
        .value_kind:     by_value
      - .offset:         8
        .size:           4
        .value_kind:     by_value
      - .offset:         12
        .size:           4
        .value_kind:     by_value
      - .offset:         16
        .size:           4
        .value_kind:     by_value
      - .offset:         20
        .size:           4
        .value_kind:     by_value
      - .offset:         24
        .size:           4
        .value_kind:     by_value
      - .offset:         28
        .size:           4
        .value_kind:     by_value
      - .offset:         32
        .size:           4
        .value_kind:     by_value
      - .offset:         36
        .size:           4
        .value_kind:     by_value
      - .offset:         40
        .size:           4
        .value_kind:     by_value
      - .address_space:  global
        .offset:         48
        .size:           8
        .value_kind:     global_buffer
      - .offset:         56
        .size:           4
        .value_kind:     hidden_block_count_x
      - .offset:         60
        .size:           4
        .value_kind:     hidden_block_count_y
      - .offset:         64
        .size:           4
        .value_kind:     hidden_block_count_z
      - .offset:         68
        .size:           2
        .value_kind:     hidden_group_size_x
      - .offset:         70
        .size:           2
        .value_kind:     hidden_group_size_y
      - .offset:         72
        .size:           2
        .value_kind:     hidden_group_size_z
      - .offset:         74
        .size:           2
        .value_kind:     hidden_remainder_x
      - .offset:         76
        .size:           2
        .value_kind:     hidden_remainder_y
      - .offset:         78
        .size:           2
        .value_kind:     hidden_remainder_z
      - .offset:         96
        .size:           8
        .value_kind:     hidden_global_offset_x
      - .offset:         104
        .size:           8
        .value_kind:     hidden_global_offset_y
      - .offset:         112
        .size:           8
        .value_kind:     hidden_global_offset_z
      - .offset:         120
        .size:           2
        .value_kind:     hidden_grid_dims
    .group_segment_fixed_size: 0
    .kernarg_segment_align: 8
    .kernarg_segment_size: 312
    .language:       OpenCL C
    .language_version:
      - 2
      - 0
    .max_flat_workgroup_size: 1024
    .name:           _Z12latency_testIiEvT_S0_S0_S0_S0_S0_S0_S0_S0_S0_iPi
    .private_segment_fixed_size: 0
    .sgpr_count:     18
    .sgpr_spill_count: 0
    .symbol:         _Z12latency_testIiEvT_S0_S0_S0_S0_S0_S0_S0_S0_S0_iPi.kd
    .uniform_work_group_size: 1
    .uses_dynamic_stack: false
    .vgpr_count:     6
    .vgpr_spill_count: 0
    .wavefront_size: 32
    .workgroup_processor_mode: 1
  - .args:
      - .offset:         0
        .size:           16
        .value_kind:     by_value
      - .offset:         16
        .size:           16
        .value_kind:     by_value
      - .offset:         32
        .size:           16
        .value_kind:     by_value
      - .offset:         48
        .size:           16
        .value_kind:     by_value
      - .offset:         64
        .size:           16
        .value_kind:     by_value
      - .offset:         80
        .size:           16
        .value_kind:     by_value
      - .offset:         96
        .size:           16
        .value_kind:     by_value
      - .offset:         112
        .size:           16
        .value_kind:     by_value
      - .offset:         128
        .size:           16
        .value_kind:     by_value
      - .offset:         144
        .size:           16
        .value_kind:     by_value
      - .offset:         160
        .size:           4
        .value_kind:     by_value
      - .address_space:  global
        .offset:         168
        .size:           8
        .value_kind:     global_buffer
      - .offset:         176
        .size:           4
        .value_kind:     hidden_block_count_x
      - .offset:         180
        .size:           4
        .value_kind:     hidden_block_count_y
      - .offset:         184
        .size:           4
        .value_kind:     hidden_block_count_z
      - .offset:         188
        .size:           2
        .value_kind:     hidden_group_size_x
      - .offset:         190
        .size:           2
        .value_kind:     hidden_group_size_y
      - .offset:         192
        .size:           2
        .value_kind:     hidden_group_size_z
      - .offset:         194
        .size:           2
        .value_kind:     hidden_remainder_x
      - .offset:         196
        .size:           2
        .value_kind:     hidden_remainder_y
      - .offset:         198
        .size:           2
        .value_kind:     hidden_remainder_z
      - .offset:         216
        .size:           8
        .value_kind:     hidden_global_offset_x
      - .offset:         224
        .size:           8
        .value_kind:     hidden_global_offset_y
      - .offset:         232
        .size:           8
        .value_kind:     hidden_global_offset_z
      - .offset:         240
        .size:           2
        .value_kind:     hidden_grid_dims
    .group_segment_fixed_size: 0
    .kernarg_segment_align: 8
    .kernarg_segment_size: 432
    .language:       OpenCL C
    .language_version:
      - 2
      - 0
    .max_flat_workgroup_size: 1024
    .name:           _Z12latency_testI11int_fastdivEvT_S1_S1_S1_S1_S1_S1_S1_S1_S1_iPi
    .private_segment_fixed_size: 0
    .sgpr_count:     18
    .sgpr_spill_count: 0
    .symbol:         _Z12latency_testI11int_fastdivEvT_S1_S1_S1_S1_S1_S1_S1_S1_S1_iPi.kd
    .uniform_work_group_size: 1
    .uses_dynamic_stack: false
    .vgpr_count:     6
    .vgpr_spill_count: 0
    .wavefront_size: 32
    .workgroup_processor_mode: 1
amdhsa.target:   amdgcn-amd-amdhsa--gfx1100
amdhsa.version:
  - 1
  - 2
...

	.end_amdgpu_metadata
